;; amdgpu-corpus repo=ROCm/rocFFT kind=compiled arch=gfx950 opt=O3
	.text
	.amdgcn_target "amdgcn-amd-amdhsa--gfx950"
	.amdhsa_code_object_version 6
	.protected	fft_rtc_fwd_len1701_factors_3_3_3_3_3_7_wgs_63_tpt_63_halfLds_dp_op_CI_CI_unitstride_sbrr_dirReg ; -- Begin function fft_rtc_fwd_len1701_factors_3_3_3_3_3_7_wgs_63_tpt_63_halfLds_dp_op_CI_CI_unitstride_sbrr_dirReg
	.globl	fft_rtc_fwd_len1701_factors_3_3_3_3_3_7_wgs_63_tpt_63_halfLds_dp_op_CI_CI_unitstride_sbrr_dirReg
	.p2align	8
	.type	fft_rtc_fwd_len1701_factors_3_3_3_3_3_7_wgs_63_tpt_63_halfLds_dp_op_CI_CI_unitstride_sbrr_dirReg,@function
fft_rtc_fwd_len1701_factors_3_3_3_3_3_7_wgs_63_tpt_63_halfLds_dp_op_CI_CI_unitstride_sbrr_dirReg: ; @fft_rtc_fwd_len1701_factors_3_3_3_3_3_7_wgs_63_tpt_63_halfLds_dp_op_CI_CI_unitstride_sbrr_dirReg
; %bb.0:
	s_load_dwordx4 s[8:11], s[0:1], 0x58
	s_load_dwordx4 s[4:7], s[0:1], 0x0
	;; [unrolled: 1-line block ×3, first 2 shown]
	v_mul_u32_u24_e32 v1, 0x411, v0
	v_add_u32_sdwa v6, s2, v1 dst_sel:DWORD dst_unused:UNUSED_PAD src0_sel:DWORD src1_sel:WORD_1
	v_mov_b32_e32 v4, 0
	s_waitcnt lgkmcnt(0)
	v_cmp_lt_u64_e64 s[2:3], s[6:7], 2
	v_mov_b32_e32 v7, v4
	s_and_b64 vcc, exec, s[2:3]
	v_mov_b64_e32 v[2:3], 0
	s_cbranch_vccnz .LBB0_8
; %bb.1:
	s_load_dwordx2 s[2:3], s[0:1], 0x10
	s_add_u32 s16, s14, 8
	s_addc_u32 s17, s15, 0
	s_add_u32 s18, s12, 8
	s_addc_u32 s19, s13, 0
	s_waitcnt lgkmcnt(0)
	s_add_u32 s20, s2, 8
	v_mov_b64_e32 v[2:3], 0
	s_addc_u32 s21, s3, 0
	s_mov_b64 s[22:23], 1
	v_mov_b64_e32 v[142:143], v[2:3]
.LBB0_2:                                ; =>This Inner Loop Header: Depth=1
	s_load_dwordx2 s[24:25], s[20:21], 0x0
                                        ; implicit-def: $vgpr134_vgpr135
	s_waitcnt lgkmcnt(0)
	v_or_b32_e32 v5, s25, v7
	v_cmp_ne_u64_e32 vcc, 0, v[4:5]
	s_and_saveexec_b64 s[2:3], vcc
	s_xor_b64 s[26:27], exec, s[2:3]
	s_cbranch_execz .LBB0_4
; %bb.3:                                ;   in Loop: Header=BB0_2 Depth=1
	v_cvt_f32_u32_e32 v1, s24
	v_cvt_f32_u32_e32 v5, s25
	s_sub_u32 s2, 0, s24
	s_subb_u32 s3, 0, s25
	v_fmac_f32_e32 v1, 0x4f800000, v5
	v_rcp_f32_e32 v1, v1
	s_nop 0
	v_mul_f32_e32 v1, 0x5f7ffffc, v1
	v_mul_f32_e32 v5, 0x2f800000, v1
	v_trunc_f32_e32 v5, v5
	v_fmac_f32_e32 v1, 0xcf800000, v5
	v_cvt_u32_f32_e32 v5, v5
	v_cvt_u32_f32_e32 v1, v1
	v_mul_lo_u32 v8, s2, v5
	v_mul_hi_u32 v10, s2, v1
	v_mul_lo_u32 v9, s3, v1
	v_add_u32_e32 v10, v10, v8
	v_mul_lo_u32 v12, s2, v1
	v_add_u32_e32 v13, v10, v9
	v_mul_hi_u32 v8, v1, v12
	v_mul_hi_u32 v11, v1, v13
	v_mul_lo_u32 v10, v1, v13
	v_mov_b32_e32 v9, v4
	v_lshl_add_u64 v[8:9], v[8:9], 0, v[10:11]
	v_mul_hi_u32 v11, v5, v12
	v_mul_lo_u32 v12, v5, v12
	v_add_co_u32_e32 v8, vcc, v8, v12
	v_mul_hi_u32 v10, v5, v13
	s_nop 0
	v_addc_co_u32_e32 v8, vcc, v9, v11, vcc
	v_mov_b32_e32 v9, v4
	s_nop 0
	v_addc_co_u32_e32 v11, vcc, 0, v10, vcc
	v_mul_lo_u32 v10, v5, v13
	v_lshl_add_u64 v[8:9], v[8:9], 0, v[10:11]
	v_add_co_u32_e32 v1, vcc, v1, v8
	v_mul_lo_u32 v10, s2, v1
	s_nop 0
	v_addc_co_u32_e32 v5, vcc, v5, v9, vcc
	v_mul_lo_u32 v8, s2, v5
	v_mul_hi_u32 v9, s2, v1
	v_add_u32_e32 v8, v9, v8
	v_mul_lo_u32 v9, s3, v1
	v_add_u32_e32 v12, v8, v9
	v_mul_hi_u32 v14, v5, v10
	v_mul_lo_u32 v15, v5, v10
	v_mul_hi_u32 v9, v1, v12
	v_mul_lo_u32 v8, v1, v12
	v_mul_hi_u32 v10, v1, v10
	v_mov_b32_e32 v11, v4
	v_lshl_add_u64 v[8:9], v[10:11], 0, v[8:9]
	v_add_co_u32_e32 v8, vcc, v8, v15
	v_mul_hi_u32 v13, v5, v12
	s_nop 0
	v_addc_co_u32_e32 v8, vcc, v9, v14, vcc
	v_mul_lo_u32 v10, v5, v12
	s_nop 0
	v_addc_co_u32_e32 v11, vcc, 0, v13, vcc
	v_mov_b32_e32 v9, v4
	v_lshl_add_u64 v[8:9], v[8:9], 0, v[10:11]
	v_add_co_u32_e32 v1, vcc, v1, v8
	v_mul_hi_u32 v10, v6, v1
	s_nop 0
	v_addc_co_u32_e32 v5, vcc, v5, v9, vcc
	v_mad_u64_u32 v[8:9], s[2:3], v6, v5, 0
	v_mov_b32_e32 v11, v4
	v_lshl_add_u64 v[8:9], v[10:11], 0, v[8:9]
	v_mad_u64_u32 v[12:13], s[2:3], v7, v1, 0
	v_add_co_u32_e32 v1, vcc, v8, v12
	v_mad_u64_u32 v[10:11], s[2:3], v7, v5, 0
	s_nop 0
	v_addc_co_u32_e32 v8, vcc, v9, v13, vcc
	v_mov_b32_e32 v9, v4
	s_nop 0
	v_addc_co_u32_e32 v11, vcc, 0, v11, vcc
	v_lshl_add_u64 v[8:9], v[8:9], 0, v[10:11]
	v_mul_lo_u32 v1, s25, v8
	v_mul_lo_u32 v5, s24, v9
	v_mad_u64_u32 v[10:11], s[2:3], s24, v8, 0
	v_add3_u32 v1, v11, v5, v1
	v_sub_u32_e32 v5, v7, v1
	v_mov_b32_e32 v11, s25
	v_sub_co_u32_e32 v14, vcc, v6, v10
	v_lshl_add_u64 v[12:13], v[8:9], 0, 1
	s_nop 0
	v_subb_co_u32_e64 v5, s[2:3], v5, v11, vcc
	v_subrev_co_u32_e64 v10, s[2:3], s24, v14
	v_subb_co_u32_e32 v1, vcc, v7, v1, vcc
	s_nop 0
	v_subbrev_co_u32_e64 v5, s[2:3], 0, v5, s[2:3]
	v_cmp_le_u32_e64 s[2:3], s25, v5
	v_cmp_le_u32_e32 vcc, s25, v1
	s_nop 0
	v_cndmask_b32_e64 v11, 0, -1, s[2:3]
	v_cmp_le_u32_e64 s[2:3], s24, v10
	s_nop 1
	v_cndmask_b32_e64 v10, 0, -1, s[2:3]
	v_cmp_eq_u32_e64 s[2:3], s25, v5
	s_nop 1
	v_cndmask_b32_e64 v5, v11, v10, s[2:3]
	v_lshl_add_u64 v[10:11], v[8:9], 0, 2
	v_cmp_ne_u32_e64 s[2:3], 0, v5
	s_nop 1
	v_cndmask_b32_e64 v5, v13, v11, s[2:3]
	v_cndmask_b32_e64 v11, 0, -1, vcc
	v_cmp_le_u32_e32 vcc, s24, v14
	s_nop 1
	v_cndmask_b32_e64 v13, 0, -1, vcc
	v_cmp_eq_u32_e32 vcc, s25, v1
	s_nop 1
	v_cndmask_b32_e32 v1, v11, v13, vcc
	v_cmp_ne_u32_e32 vcc, 0, v1
	v_cndmask_b32_e64 v1, v12, v10, s[2:3]
	s_nop 0
	v_cndmask_b32_e32 v135, v9, v5, vcc
	v_cndmask_b32_e32 v134, v8, v1, vcc
.LBB0_4:                                ;   in Loop: Header=BB0_2 Depth=1
	s_andn2_saveexec_b64 s[2:3], s[26:27]
	s_cbranch_execz .LBB0_6
; %bb.5:                                ;   in Loop: Header=BB0_2 Depth=1
	v_cvt_f32_u32_e32 v1, s24
	s_sub_i32 s26, 0, s24
	v_mov_b32_e32 v135, v4
	v_rcp_iflag_f32_e32 v1, v1
	s_nop 0
	v_mul_f32_e32 v1, 0x4f7ffffe, v1
	v_cvt_u32_f32_e32 v1, v1
	v_mul_lo_u32 v5, s26, v1
	v_mul_hi_u32 v5, v1, v5
	v_add_u32_e32 v1, v1, v5
	v_mul_hi_u32 v1, v6, v1
	v_mul_lo_u32 v5, v1, s24
	v_sub_u32_e32 v5, v6, v5
	v_add_u32_e32 v8, 1, v1
	v_subrev_u32_e32 v9, s24, v5
	v_cmp_le_u32_e32 vcc, s24, v5
	s_nop 1
	v_cndmask_b32_e32 v5, v5, v9, vcc
	v_cndmask_b32_e32 v1, v1, v8, vcc
	v_add_u32_e32 v8, 1, v1
	v_cmp_le_u32_e32 vcc, s24, v5
	s_nop 1
	v_cndmask_b32_e32 v134, v1, v8, vcc
.LBB0_6:                                ;   in Loop: Header=BB0_2 Depth=1
	s_or_b64 exec, exec, s[2:3]
	v_mad_u64_u32 v[8:9], s[2:3], v134, s24, 0
	s_load_dwordx2 s[2:3], s[18:19], 0x0
	v_mul_lo_u32 v1, v135, s24
	v_mul_lo_u32 v5, v134, s25
	s_load_dwordx2 s[24:25], s[16:17], 0x0
	s_add_u32 s22, s22, 1
	v_add3_u32 v1, v9, v5, v1
	v_sub_co_u32_e32 v5, vcc, v6, v8
	s_addc_u32 s23, s23, 0
	s_nop 0
	v_subb_co_u32_e32 v1, vcc, v7, v1, vcc
	s_add_u32 s16, s16, 8
	s_waitcnt lgkmcnt(0)
	v_mul_lo_u32 v6, s2, v1
	v_mul_lo_u32 v7, s3, v5
	v_mad_u64_u32 v[2:3], s[2:3], s2, v5, v[2:3]
	s_addc_u32 s17, s17, 0
	v_add3_u32 v3, v7, v3, v6
	v_mul_lo_u32 v1, s24, v1
	v_mul_lo_u32 v6, s25, v5
	v_mad_u64_u32 v[142:143], s[2:3], s24, v5, v[142:143]
	s_add_u32 s18, s18, 8
	v_add3_u32 v143, v6, v143, v1
	s_addc_u32 s19, s19, 0
	v_mov_b64_e32 v[6:7], s[6:7]
	s_add_u32 s20, s20, 8
	v_cmp_ge_u64_e32 vcc, s[22:23], v[6:7]
	s_addc_u32 s21, s21, 0
	s_cbranch_vccnz .LBB0_9
; %bb.7:                                ;   in Loop: Header=BB0_2 Depth=1
	v_mov_b64_e32 v[6:7], v[134:135]
	s_branch .LBB0_2
.LBB0_8:
	v_mov_b64_e32 v[142:143], v[2:3]
	v_mov_b64_e32 v[134:135], v[6:7]
.LBB0_9:
	s_load_dwordx2 s[0:1], s[0:1], 0x28
	s_lshl_b64 s[6:7], s[6:7], 3
	s_add_u32 s14, s14, s6
	s_addc_u32 s15, s15, s7
                                        ; implicit-def: $vgpr160
	s_waitcnt lgkmcnt(0)
	v_cmp_gt_u64_e32 vcc, s[0:1], v[134:135]
	v_cmp_le_u64_e64 s[0:1], s[0:1], v[134:135]
	s_and_saveexec_b64 s[2:3], s[0:1]
	s_xor_b64 s[0:1], exec, s[2:3]
; %bb.10:
	s_mov_b32 s2, 0x4104105
	v_mul_hi_u32 v1, v0, s2
	v_mul_u32_u24_e32 v1, 63, v1
	v_sub_u32_e32 v160, v0, v1
                                        ; implicit-def: $vgpr0
                                        ; implicit-def: $vgpr2_vgpr3
; %bb.11:
	s_or_saveexec_b64 s[2:3], s[0:1]
                                        ; implicit-def: $vgpr118_vgpr119
                                        ; implicit-def: $vgpr106_vgpr107
                                        ; implicit-def: $vgpr70_vgpr71
                                        ; implicit-def: $vgpr114_vgpr115
                                        ; implicit-def: $vgpr78_vgpr79
                                        ; implicit-def: $vgpr52_vgpr53
                                        ; implicit-def: $vgpr82_vgpr83
                                        ; implicit-def: $vgpr86_vgpr87
                                        ; implicit-def: $vgpr58_vgpr59
                                        ; implicit-def: $vgpr90_vgpr91
                                        ; implicit-def: $vgpr94_vgpr95
                                        ; implicit-def: $vgpr64_vgpr65
                                        ; implicit-def: $vgpr98_vgpr99
                                        ; implicit-def: $vgpr102_vgpr103
                                        ; implicit-def: $vgpr22_vgpr23
                                        ; implicit-def: $vgpr110_vgpr111
                                        ; implicit-def: $vgpr38_vgpr39
                                        ; implicit-def: $vgpr30_vgpr31
                                        ; implicit-def: $vgpr126_vgpr127
                                        ; implicit-def: $vgpr12_vgpr13
                                        ; implicit-def: $vgpr26_vgpr27
                                        ; implicit-def: $vgpr122_vgpr123
                                        ; implicit-def: $vgpr16_vgpr17
                                        ; implicit-def: $vgpr8_vgpr9
                                        ; implicit-def: $vgpr130_vgpr131
                                        ; implicit-def: $vgpr34_vgpr35
                                        ; implicit-def: $vgpr4_vgpr5
	s_xor_b64 exec, exec, s[2:3]
	s_cbranch_execz .LBB0_13
; %bb.12:
	s_add_u32 s0, s12, s6
	s_addc_u32 s1, s13, s7
	s_load_dwordx2 s[0:1], s[0:1], 0x0
	s_mov_b32 s6, 0x4104105
	s_waitcnt lgkmcnt(0)
	v_mul_lo_u32 v1, s1, v134
	v_mul_lo_u32 v6, s0, v135
	v_mad_u64_u32 v[4:5], s[0:1], s0, v134, 0
	v_add3_u32 v5, v5, v6, v1
	v_mul_hi_u32 v1, v0, s6
	v_mul_u32_u24_e32 v1, 63, v1
	v_sub_u32_e32 v160, v0, v1
	v_lshl_add_u64 v[0:1], v[4:5], 4, s[8:9]
	v_lshl_add_u64 v[0:1], v[2:3], 4, v[0:1]
	v_lshlrev_b32_e32 v2, 4, v160
	v_mov_b32_e32 v3, 0
	v_lshl_add_u64 v[36:37], v[0:1], 0, v[2:3]
	s_movk_i32 s0, 0x2000
	v_add_co_u32_e64 v18, s[0:1], s0, v36
	s_nop 1
	v_addc_co_u32_e64 v19, s[0:1], 0, v37, s[0:1]
	s_movk_i32 s0, 0x4000
	s_nop 0
	v_add_co_u32_e64 v0, s[0:1], s0, v36
	global_load_dwordx4 v[2:5], v[36:37], off
	global_load_dwordx4 v[6:9], v[36:37], off offset:1008
	global_load_dwordx4 v[14:17], v[18:19], off offset:1888
	;; [unrolled: 1-line block ×5, first 2 shown]
	v_addc_co_u32_e64 v1, s[0:1], 0, v37, s[0:1]
	s_movk_i32 s0, 0x5000
	s_nop 0
	v_add_co_u32_e64 v40, s[0:1], s0, v36
	global_load_dwordx4 v[32:35], v[18:19], off offset:880
	global_load_dwordx4 v[20:23], v[36:37], off offset:4032
	v_addc_co_u32_e64 v41, s[0:1], 0, v37, s[0:1]
	s_movk_i32 s0, 0x3000
	s_nop 0
	v_add_co_u32_e64 v42, s[0:1], s0, v36
	s_nop 1
	v_addc_co_u32_e64 v43, s[0:1], 0, v37, s[0:1]
	s_movk_i32 s0, 0x1000
	s_nop 0
	v_add_co_u32_e64 v44, s[0:1], s0, v36
	s_nop 1
	;; [unrolled: 5-line block ×3, first 2 shown]
	v_addc_co_u32_e64 v47, s[0:1], 0, v37, s[0:1]
	global_load_dwordx4 v[96:99], v[40:41], off offset:1696
	global_load_dwordx4 v[88:91], v[40:41], off offset:2704
	;; [unrolled: 1-line block ×15, first 2 shown]
                                        ; kill: killed $vgpr18 killed $vgpr19
                                        ; kill: killed $vgpr42 killed $vgpr43
                                        ; kill: killed $vgpr40 killed $vgpr41
	global_load_dwordx4 v[104:107], v[0:1], off offset:752
	global_load_dwordx4 v[68:71], v[44:45], off offset:3968
	;; [unrolled: 1-line block ×4, first 2 shown]
.LBB0_13:
	s_or_b64 exec, exec, s[2:3]
	s_waitcnt vmcnt(6)
	v_add_f64 v[18:19], v[128:129], v[32:33]
	s_mov_b32 s2, 0xe8584caa
	v_add_f64 v[0:1], v[32:33], v[2:3]
	v_fmac_f64_e32 v[2:3], -0.5, v[18:19]
	v_add_f64 v[18:19], v[34:35], -v[130:131]
	s_mov_b32 s3, 0x3febb67a
	s_mov_b32 s7, 0xbfebb67a
	;; [unrolled: 1-line block ×3, first 2 shown]
	s_waitcnt vmcnt(5)
	v_add_f64 v[42:43], v[120:121], v[14:15]
	v_fma_f64 v[40:41], s[2:3], v[18:19], v[2:3]
	v_fmac_f64_e32 v[2:3], s[6:7], v[18:19]
	v_add_f64 v[18:19], v[14:15], v[6:7]
	v_fmac_f64_e32 v[6:7], -0.5, v[42:43]
	v_add_f64 v[42:43], v[16:17], -v[122:123]
	v_add_f64 v[46:47], v[124:125], v[10:11]
	v_fma_f64 v[44:45], s[2:3], v[42:43], v[6:7]
	v_fmac_f64_e32 v[6:7], s[6:7], v[42:43]
	v_add_f64 v[42:43], v[10:11], v[24:25]
	v_fmac_f64_e32 v[24:25], -0.5, v[46:47]
	v_add_f64 v[46:47], v[12:13], -v[126:127]
	s_waitcnt vmcnt(4)
	v_add_f64 v[54:55], v[108:109], v[36:37]
	v_add_f64 v[0:1], v[128:129], v[0:1]
	v_mad_u32_u24 v152, v160, 24, 0
	v_fma_f64 v[48:49], s[2:3], v[46:47], v[24:25]
	v_fmac_f64_e32 v[24:25], s[6:7], v[46:47]
	v_add_f64 v[46:47], v[36:37], v[28:29]
	v_fmac_f64_e32 v[28:29], -0.5, v[54:55]
	ds_write2_b64 v152, v[0:1], v[40:41] offset1:1
	v_add_f64 v[0:1], v[38:39], -v[110:111]
	v_add_f64 v[54:55], v[96:97], v[100:101]
	v_add_f64 v[18:19], v[120:121], v[18:19]
	;; [unrolled: 1-line block ×3, first 2 shown]
	v_add_u32_e32 v153, 0xbd0, v152
	v_fma_f64 v[40:41], s[2:3], v[0:1], v[28:29]
	v_fmac_f64_e32 v[28:29], s[6:7], v[0:1]
	v_add_f64 v[0:1], v[100:101], v[20:21]
	v_fmac_f64_e32 v[20:21], -0.5, v[54:55]
	ds_write2_b64 v152, v[18:19], v[44:45] offset0:189 offset1:190
	v_add_f64 v[18:19], v[102:103], -v[98:99]
	ds_write2_b64 v153, v[42:43], v[48:49] offset1:1
	v_add_f64 v[42:43], v[88:89], v[92:93]
	v_fma_f64 v[44:45], s[2:3], v[18:19], v[20:21]
	v_fmac_f64_e32 v[20:21], s[6:7], v[18:19]
	v_add_f64 v[18:19], v[92:93], v[62:63]
	v_fmac_f64_e32 v[62:63], -0.5, v[42:43]
	v_add_f64 v[42:43], v[94:95], -v[90:91]
	v_add_u32_e32 v149, 0xfc, v160
	v_fma_f64 v[48:49], s[2:3], v[42:43], v[62:63]
	v_fmac_f64_e32 v[62:63], s[6:7], v[42:43]
	v_add_f64 v[42:43], v[108:109], v[46:47]
	v_add_f64 v[0:1], v[96:97], v[0:1]
	ds_write2_b64 v152, v[2:3], v[6:7] offset0:2 offset1:191
	v_add_u32_e32 v155, 0x11b8, v152
	v_add_u32_e32 v156, 0xa00, v152
	v_mad_u32_u24 v157, v149, 24, 0
	v_add_f64 v[2:3], v[80:81], v[84:85]
	ds_write2_b64 v155, v[42:43], v[40:41] offset1:1
	ds_write2_b64 v156, v[24:25], v[28:29] offset0:60 offset1:249
	ds_write2_b64 v157, v[0:1], v[44:45] offset1:1
	v_add_f64 v[0:1], v[84:85], v[56:57]
	v_fmac_f64_e32 v[56:57], -0.5, v[2:3]
	v_add_u32_e32 v148, 0x13b, v160
	v_add_f64 v[2:3], v[86:87], -v[82:83]
	v_add_u32_e32 v147, 0x17a, v160
	v_add_f64 v[18:19], v[88:89], v[18:19]
	v_add_f64 v[0:1], v[80:81], v[0:1]
	v_mad_u32_u24 v158, v148, 24, 0
	v_fma_f64 v[6:7], s[2:3], v[2:3], v[56:57]
	v_fmac_f64_e32 v[56:57], s[6:7], v[2:3]
	v_mad_u32_u24 v159, v147, 24, 0
	s_waitcnt vmcnt(1)
	v_add_f64 v[2:3], v[112:113], v[76:77]
	ds_write_b64 v157, v[20:21] offset:16
	ds_write2_b64 v158, v[18:19], v[48:49] offset1:1
	ds_write_b64 v158, v[62:63] offset:16
	ds_write2_b64 v159, v[0:1], v[6:7] offset1:1
	v_add_f64 v[0:1], v[76:77], v[50:51]
	v_fmac_f64_e32 v[50:51], -0.5, v[2:3]
	v_add_f64 v[2:3], v[78:79], -v[114:115]
	v_add_u32_e32 v145, 0x1b9, v160
	v_add_f64 v[0:1], v[112:113], v[0:1]
	v_mad_u32_u24 v161, v145, 24, 0
	v_fma_f64 v[6:7], s[2:3], v[2:3], v[50:51]
	v_fmac_f64_e32 v[50:51], s[6:7], v[2:3]
	s_waitcnt vmcnt(0)
	v_add_f64 v[2:3], v[116:117], v[104:105]
	ds_write_b64 v159, v[56:57] offset:16
	ds_write2_b64 v161, v[0:1], v[6:7] offset1:1
	v_add_f64 v[0:1], v[104:105], v[68:69]
	v_fmac_f64_e32 v[68:69], -0.5, v[2:3]
	v_add_f64 v[2:3], v[106:107], -v[118:119]
	v_add_f64 v[0:1], v[116:117], v[0:1]
	v_add_u32_e32 v162, 0x2f40, v152
	v_fma_f64 v[6:7], s[2:3], v[2:3], v[68:69]
	ds_write_b64 v161, v[50:51] offset:16
	ds_write2_b64 v162, v[0:1], v[6:7] offset1:1
	v_add_f64 v[0:1], v[126:127], v[12:13]
	v_add_f64 v[6:7], v[12:13], v[26:27]
	v_fmac_f64_e32 v[26:27], -0.5, v[0:1]
	v_add_f64 v[0:1], v[10:11], -v[124:125]
	v_fma_f64 v[24:25], s[6:7], v[0:1], v[26:27]
	v_fmac_f64_e32 v[26:27], s[2:3], v[0:1]
	v_add_f64 v[0:1], v[110:111], v[38:39]
	v_add_f64 v[28:29], v[38:39], v[30:31]
	v_fmac_f64_e32 v[30:31], -0.5, v[0:1]
	v_add_f64 v[0:1], v[36:37], -v[108:109]
	v_fma_f64 v[140:141], s[6:7], v[0:1], v[30:31]
	v_fmac_f64_e32 v[30:31], s[2:3], v[0:1]
	v_lshlrev_b32_e32 v0, 4, v149
	v_sub_u32_e32 v150, v157, v0
	v_lshlrev_b32_e32 v0, 4, v148
	v_sub_u32_e32 v151, v158, v0
	v_lshlrev_b32_e32 v0, 4, v147
	v_fmac_f64_e32 v[68:69], s[6:7], v[2:3]
	v_sub_u32_e32 v154, v159, v0
	v_lshlrev_b32_e32 v0, 4, v145
	v_lshl_add_u32 v163, v160, 3, 0
	s_load_dwordx2 s[8:9], s[14:15], 0x0
	ds_write_b64 v152, v[68:69] offset:12112
	s_waitcnt lgkmcnt(0)
	; wave barrier
	s_waitcnt lgkmcnt(0)
	v_sub_u32_e32 v171, v161, v0
	v_add_u32_e32 v166, 0xc00, v163
	v_add_u32_e32 v165, 0x2000, v163
	;; [unrolled: 1-line block ×9, first 2 shown]
	ds_read_b64 v[124:125], v154
	ds_read_b64 v[108:109], v171
	;; [unrolled: 1-line block ×4, first 2 shown]
	ds_read_b64 v[138:139], v163 offset:13104
	ds_read2_b64 v[18:21], v163 offset1:63
	ds_read2_b64 v[0:3], v166 offset0:120 offset1:183
	ds_read2_b64 v[72:75], v165 offset0:110 offset1:173
	;; [unrolled: 1-line block ×10, first 2 shown]
	s_waitcnt lgkmcnt(0)
	; wave barrier
	s_waitcnt lgkmcnt(0)
	ds_write2_b64 v156, v[26:27], v[30:31] offset0:60 offset1:249
	v_add_f64 v[30:31], v[130:131], v[34:35]
	v_add_f64 v[26:27], v[34:35], v[4:5]
	v_fmac_f64_e32 v[4:5], -0.5, v[30:31]
	v_add_f64 v[30:31], v[32:33], -v[128:129]
	v_fma_f64 v[32:33], s[6:7], v[30:31], v[4:5]
	v_fmac_f64_e32 v[4:5], s[2:3], v[30:31]
	v_add_f64 v[30:31], v[16:17], v[8:9]
	v_add_f64 v[16:17], v[122:123], v[16:17]
	v_fmac_f64_e32 v[8:9], -0.5, v[16:17]
	v_add_f64 v[14:15], v[14:15], -v[120:121]
	v_fma_f64 v[16:17], s[6:7], v[14:15], v[8:9]
	v_fmac_f64_e32 v[8:9], s[2:3], v[14:15]
	ds_write2_b64 v152, v[4:5], v[8:9] offset0:2 offset1:191
	v_add_f64 v[4:5], v[126:127], v[6:7]
	ds_write2_b64 v153, v[4:5], v[24:25] offset1:1
	v_add_f64 v[4:5], v[110:111], v[28:29]
	v_add_f64 v[14:15], v[98:99], v[102:103]
	;; [unrolled: 1-line block ×3, first 2 shown]
	ds_write2_b64 v155, v[4:5], v[140:141] offset1:1
	v_add_f64 v[4:5], v[130:131], v[26:27]
	v_add_f64 v[6:7], v[122:123], v[30:31]
	;; [unrolled: 1-line block ×3, first 2 shown]
	v_add_f64 v[24:25], v[100:101], -v[96:97]
	v_add_f64 v[26:27], v[94:95], v[64:65]
	v_add_f64 v[28:29], v[90:91], v[94:95]
	v_add_f64 v[30:31], v[92:93], -v[88:89]
	v_add_f64 v[86:87], v[82:83], v[86:87]
	v_add_f64 v[34:35], v[82:83], v[34:35]
	;; [unrolled: 1-line block ×5, first 2 shown]
	v_fmac_f64_e32 v[22:23], -0.5, v[14:15]
	v_add_f64 v[8:9], v[98:99], v[8:9]
	v_add_f64 v[26:27], v[90:91], v[26:27]
	v_add_f64 v[80:81], v[84:85], -v[80:81]
	v_add_f64 v[76:77], v[76:77], -v[112:113]
	v_add_f64 v[84:85], v[106:107], v[70:71]
	v_add_f64 v[90:91], v[104:105], -v[116:117]
	ds_write2_b64 v152, v[4:5], v[32:33] offset1:1
	v_fma_f64 v[4:5], s[6:7], v[24:25], v[22:23]
	v_fmac_f64_e32 v[64:65], -0.5, v[28:29]
	v_fmac_f64_e32 v[58:59], -0.5, v[86:87]
	v_fmac_f64_e32 v[52:53], -0.5, v[78:79]
	v_fmac_f64_e32 v[70:71], -0.5, v[88:89]
	v_add_u32_e32 v153, 63, v160
	s_movk_i32 s0, 0xab
	v_add_f64 v[82:83], v[114:115], v[82:83]
	v_add_f64 v[84:85], v[118:119], v[84:85]
	v_fmac_f64_e32 v[22:23], s[2:3], v[24:25]
	v_fma_f64 v[14:15], s[6:7], v[30:31], v[64:65]
	v_fmac_f64_e32 v[64:65], s[2:3], v[30:31]
	v_fma_f64 v[24:25], s[6:7], v[80:81], v[58:59]
	v_fmac_f64_e32 v[58:59], s[2:3], v[80:81]
	v_fma_f64 v[28:29], s[6:7], v[76:77], v[52:53]
	v_fmac_f64_e32 v[52:53], s[2:3], v[76:77]
	v_fma_f64 v[30:31], s[6:7], v[90:91], v[70:71]
	v_fmac_f64_e32 v[70:71], s[2:3], v[90:91]
	ds_write2_b64 v152, v[6:7], v[16:17] offset0:189 offset1:190
	ds_write2_b64 v157, v[8:9], v[4:5] offset1:1
	ds_write_b64 v157, v[22:23] offset:16
	ds_write2_b64 v158, v[26:27], v[14:15] offset1:1
	ds_write_b64 v158, v[64:65] offset:16
	;; [unrolled: 2-line block ×5, first 2 shown]
	v_mul_lo_u16_sdwa v4, v160, s0 dst_sel:DWORD dst_unused:UNUSED_PAD src0_sel:BYTE_0 src1_sel:DWORD
	v_mul_lo_u16_sdwa v9, v153, s0 dst_sel:DWORD dst_unused:UNUSED_PAD src0_sel:BYTE_0 src1_sel:DWORD
	v_lshrrev_b16_e32 v128, 9, v4
	v_lshrrev_b16_e32 v34, 9, v9
	v_mul_lo_u16_e32 v4, 3, v128
	v_mul_lo_u16_e32 v9, 3, v34
	v_sub_u16_e32 v129, v160, v4
	v_mov_b32_e32 v152, 5
	v_sub_u16_e32 v35, v153, v9
	v_lshlrev_b32_sdwa v8, v152, v129 dst_sel:DWORD dst_unused:UNUSED_PAD src0_sel:DWORD src1_sel:BYTE_0
	v_lshlrev_b32_sdwa v9, v152, v35 dst_sel:DWORD dst_unused:UNUSED_PAD src0_sel:DWORD src1_sel:BYTE_0
	v_add_u32_e32 v162, 0x7e, v160
	s_waitcnt lgkmcnt(0)
	; wave barrier
	s_waitcnt lgkmcnt(0)
	global_load_dwordx4 v[4:7], v8, s[4:5] offset:16
	global_load_dwordx4 v[22:25], v9, s[4:5]
	global_load_dwordx4 v[14:17], v9, s[4:5] offset:16
	v_mul_lo_u16_sdwa v9, v162, s0 dst_sel:DWORD dst_unused:UNUSED_PAD src0_sel:BYTE_0 src1_sel:DWORD
	v_lshrrev_b16_e32 v130, 9, v9
	v_mul_lo_u16_e32 v9, 3, v130
	v_sub_u16_e32 v131, v162, v9
	v_lshlrev_b32_sdwa v9, v152, v131 dst_sel:DWORD dst_unused:UNUSED_PAD src0_sel:DWORD src1_sel:BYTE_0
	v_add_u32_e32 v161, 0xbd, v160
	global_load_dwordx4 v[30:33], v9, s[4:5]
	global_load_dwordx4 v[26:29], v9, s[4:5] offset:16
	v_mul_lo_u16_sdwa v9, v161, s0 dst_sel:DWORD dst_unused:UNUSED_PAD src0_sel:BYTE_0 src1_sel:DWORD
	v_lshrrev_b16_e32 v140, 9, v9
	v_mul_lo_u16_e32 v9, 3, v140
	v_sub_u16_e32 v141, v161, v9
	v_lshlrev_b32_sdwa v9, v152, v141 dst_sel:DWORD dst_unused:UNUSED_PAD src0_sel:DWORD src1_sel:BYTE_0
	s_mov_b32 s0, 0xaaab
	global_load_dwordx4 v[76:79], v9, s[4:5] offset:16
	global_load_dwordx4 v[80:83], v9, s[4:5]
	v_mul_u32_u24_sdwa v9, v149, s0 dst_sel:DWORD dst_unused:UNUSED_PAD src0_sel:WORD_0 src1_sel:DWORD
	v_lshrrev_b32_e32 v192, 17, v9
	v_mul_lo_u16_e32 v9, 3, v192
	v_sub_u16_e32 v193, v149, v9
	v_lshlrev_b32_e32 v9, 5, v193
	global_load_dwordx4 v[84:87], v9, s[4:5]
	global_load_dwordx4 v[88:91], v9, s[4:5] offset:16
	v_mul_u32_u24_sdwa v9, v148, s0 dst_sel:DWORD dst_unused:UNUSED_PAD src0_sel:WORD_0 src1_sel:DWORD
	v_lshrrev_b32_e32 v194, 17, v9
	v_mul_lo_u16_e32 v9, 3, v194
	v_sub_u16_e32 v195, v148, v9
	v_lshlrev_b32_e32 v9, 5, v195
	global_load_dwordx4 v[92:95], v9, s[4:5] offset:16
	global_load_dwordx4 v[110:113], v9, s[4:5]
	v_mul_u32_u24_sdwa v9, v147, s0 dst_sel:DWORD dst_unused:UNUSED_PAD src0_sel:WORD_0 src1_sel:DWORD
	v_lshrrev_b32_e32 v196, 17, v9
	v_mul_lo_u16_e32 v9, 3, v196
	v_sub_u16_e32 v197, v147, v9
	v_add_u32_e32 v155, 0x1f8, v160
	v_lshlrev_b32_e32 v9, 5, v197
	v_mul_u32_u24_sdwa v52, v155, s0 dst_sel:DWORD dst_unused:UNUSED_PAD src0_sel:WORD_0 src1_sel:DWORD
	v_lshrrev_b32_e32 v198, 17, v52
	global_load_dwordx4 v[114:117], v9, s[4:5]
	v_mul_lo_u16_e32 v52, 3, v198
	v_sub_u16_e32 v199, v155, v52
	v_mul_u32_u24_sdwa v53, v145, s0 dst_sel:DWORD dst_unused:UNUSED_PAD src0_sel:WORD_0 src1_sel:DWORD
	v_lshlrev_b32_e32 v52, 5, v199
	global_load_dwordx4 v[156:159], v52, s[4:5]
	v_lshrrev_b32_e32 v200, 17, v53
	v_mul_lo_u16_e32 v53, 3, v200
	v_sub_u16_e32 v201, v145, v53
	v_lshlrev_b32_e32 v53, 5, v201
	global_load_dwordx4 v[172:175], v53, s[4:5]
	global_load_dwordx4 v[176:179], v9, s[4:5] offset:16
	global_load_dwordx4 v[180:183], v53, s[4:5] offset:16
	ds_read2_b64 v[96:99], v165 offset0:110 offset1:173
	global_load_dwordx4 v[184:187], v52, s[4:5] offset:16
	global_load_dwordx4 v[188:191], v8, s[4:5]
	ds_read2_b64 v[100:103], v168 offset0:118 offset1:181
	s_mov_b32 s12, 0x5040100
	s_movk_i32 s0, 0x48
	s_waitcnt vmcnt(17) lgkmcnt(1)
	v_mul_f64 v[8:9], v[96:97], v[6:7]
	v_mul_f64 v[6:7], v[72:73], v[6:7]
	v_fma_f64 v[8:9], v[72:73], v[4:5], -v[8:9]
	v_fmac_f64_e32 v[6:7], v[96:97], v[4:5]
	s_waitcnt vmcnt(15)
	v_mul_f64 v[4:5], v[98:99], v[16:17]
	v_mul_f64 v[70:71], v[74:75], v[16:17]
	v_fma_f64 v[58:59], v[74:75], v[14:15], -v[4:5]
	v_fmac_f64_e32 v[70:71], v[98:99], v[14:15]
	ds_read2_b64 v[14:17], v164 offset0:108 offset1:171
	s_waitcnt lgkmcnt(1)
	v_mul_f64 v[4:5], v[100:101], v[24:25]
	v_mul_f64 v[104:105], v[66:67], v[24:25]
	v_fma_f64 v[96:97], v[66:67], v[22:23], -v[4:5]
	v_fmac_f64_e32 v[104:105], v[100:101], v[22:23]
	ds_read2_b64 v[22:25], v144 offset0:116 offset1:179
	s_waitcnt vmcnt(14)
	v_mul_f64 v[4:5], v[102:103], v[32:33]
	v_fma_f64 v[64:65], v[68:69], v[30:31], -v[4:5]
	s_waitcnt vmcnt(13) lgkmcnt(1)
	v_mul_f64 v[4:5], v[14:15], v[28:29]
	v_mul_f64 v[100:101], v[60:61], v[28:29]
	s_waitcnt vmcnt(12)
	v_mul_f64 v[74:75], v[62:63], v[78:79]
	v_fma_f64 v[98:99], v[60:61], v[26:27], -v[4:5]
	v_fmac_f64_e32 v[100:101], v[14:15], v[26:27]
	v_mul_f64 v[4:5], v[16:17], v[78:79]
	v_fmac_f64_e32 v[74:75], v[16:17], v[76:77]
	ds_read2_b64 v[14:17], v169 offset0:106 offset1:169
	v_mul_f64 v[72:73], v[68:69], v[32:33]
	v_fma_f64 v[60:61], v[62:63], v[76:77], -v[4:5]
	s_waitcnt vmcnt(11) lgkmcnt(1)
	v_mul_f64 v[4:5], v[22:23], v[82:83]
	v_fmac_f64_e32 v[72:73], v[102:103], v[30:31]
	v_fma_f64 v[76:77], v[54:55], v[80:81], -v[4:5]
	v_mul_f64 v[102:103], v[54:55], v[82:83]
	s_waitcnt vmcnt(10)
	v_mul_f64 v[54:55], v[56:57], v[86:87]
	v_fmac_f64_e32 v[102:103], v[22:23], v[80:81]
	v_mul_f64 v[4:5], v[24:25], v[86:87]
	v_fmac_f64_e32 v[54:55], v[24:25], v[84:85]
	ds_read2_b64 v[22:25], v167 offset0:114 offset1:177
	v_fma_f64 v[52:53], v[56:57], v[84:85], -v[4:5]
	s_waitcnt vmcnt(9) lgkmcnt(1)
	v_mul_f64 v[4:5], v[14:15], v[90:91]
	v_fma_f64 v[56:57], v[48:49], v[88:89], -v[4:5]
	s_waitcnt vmcnt(8)
	v_mul_f64 v[4:5], v[16:17], v[94:95]
	v_mul_f64 v[62:63], v[48:49], v[90:91]
	v_fma_f64 v[48:49], v[50:51], v[92:93], -v[4:5]
	v_mul_f64 v[50:51], v[50:51], v[94:95]
	v_fmac_f64_e32 v[62:63], v[14:15], v[88:89]
	v_fmac_f64_e32 v[50:51], v[16:17], v[92:93]
	ds_read2_b64 v[14:17], v170 offset0:112 offset1:175
	s_waitcnt vmcnt(7) lgkmcnt(1)
	v_mul_f64 v[4:5], v[22:23], v[112:113]
	v_mul_f64 v[78:79], v[44:45], v[112:113]
	s_waitcnt vmcnt(6)
	v_mul_f64 v[92:93], v[46:47], v[116:117]
	v_fma_f64 v[66:67], v[44:45], v[110:111], -v[4:5]
	v_fmac_f64_e32 v[78:79], v[22:23], v[110:111]
	v_mul_f64 v[4:5], v[24:25], v[116:117]
	v_fmac_f64_e32 v[92:93], v[24:25], v[114:115]
	ds_read2_b64 v[22:25], v146 offset0:104 offset1:167
	v_fma_f64 v[68:69], v[46:47], v[114:115], -v[4:5]
	s_waitcnt vmcnt(5) lgkmcnt(1)
	v_mul_f64 v[4:5], v[16:17], v[158:159]
	v_fma_f64 v[120:121], v[42:43], v[156:157], -v[4:5]
	s_waitcnt vmcnt(4)
	v_mul_f64 v[4:5], v[14:15], v[174:175]
	v_fma_f64 v[90:91], v[40:41], v[172:173], -v[4:5]
	s_waitcnt vmcnt(3) lgkmcnt(0)
	v_mul_f64 v[4:5], v[22:23], v[178:179]
	v_fma_f64 v[112:113], v[36:37], v[176:177], -v[4:5]
	s_waitcnt vmcnt(2)
	v_mul_f64 v[4:5], v[24:25], v[182:183]
	v_fma_f64 v[110:111], v[38:39], v[180:181], -v[4:5]
	ds_read_b64 v[4:5], v163 offset:13104
	v_mul_f64 v[94:95], v[40:41], v[174:175]
	ds_read_b64 v[106:107], v154
	ds_read2_b64 v[44:47], v166 offset0:120 offset1:183
	ds_read_b64 v[116:117], v151
	ds_read_b64 v[126:127], v150
	v_fmac_f64_e32 v[94:95], v[14:15], v[172:173]
	v_mul_f64 v[118:119], v[36:37], v[178:179]
	s_waitcnt vmcnt(1) lgkmcnt(4)
	v_mul_f64 v[14:15], v[4:5], v[186:187]
	v_fma_f64 v[178:179], v[138:139], v[184:185], -v[14:15]
	v_mul_f64 v[138:139], v[138:139], v[186:187]
	v_fmac_f64_e32 v[138:139], v[4:5], v[184:185]
	s_waitcnt vmcnt(0) lgkmcnt(2)
	v_mul_f64 v[4:5], v[46:47], v[190:191]
	v_mul_f64 v[122:123], v[42:43], v[158:159]
	v_fma_f64 v[4:5], v[2:3], v[188:189], -v[4:5]
	v_mul_f64 v[2:3], v[2:3], v[190:191]
	v_mov_b32_e32 v172, 3
	v_fmac_f64_e32 v[122:123], v[16:17], v[156:157]
	v_fmac_f64_e32 v[2:3], v[46:47], v[188:189]
	v_mul_u32_u24_e32 v14, 0x48, v128
	v_lshlrev_b32_sdwa v15, v172, v129 dst_sel:DWORD dst_unused:UNUSED_PAD src0_sel:DWORD src1_sel:BYTE_0
	v_add_f64 v[16:17], v[4:5], v[8:9]
	v_add3_u32 v173, 0, v14, v15
	v_add_f64 v[14:15], v[18:19], v[4:5]
	v_fma_f64 v[16:17], -0.5, v[16:17], v[18:19]
	v_add_f64 v[18:19], v[2:3], -v[6:7]
	v_fmac_f64_e32 v[118:119], v[22:23], v[176:177]
	v_fma_f64 v[22:23], s[2:3], v[18:19], v[16:17]
	v_fmac_f64_e32 v[16:17], s[6:7], v[18:19]
	v_mul_f64 v[114:115], v[38:39], v[182:183]
	v_add_f64 v[14:15], v[14:15], v[8:9]
	ds_read_b64 v[46:47], v171
	ds_read2_b64 v[156:159], v163 offset1:63
	ds_read2_b64 v[174:177], v163 offset0:126 offset1:189
	s_waitcnt lgkmcnt(0)
	; wave barrier
	s_waitcnt lgkmcnt(0)
	v_add_f64 v[18:19], v[96:97], v[58:59]
	ds_write_b64 v173, v[16:17] offset:48
	v_mul_u32_u24_e32 v16, 0x48, v34
	v_lshlrev_b32_sdwa v17, v172, v35 dst_sel:DWORD dst_unused:UNUSED_PAD src0_sel:DWORD src1_sel:BYTE_0
	v_fmac_f64_e32 v[114:115], v[24:25], v[180:181]
	ds_write2_b64 v173, v[14:15], v[22:23] offset1:3
	v_add_f64 v[14:15], v[20:21], v[96:97]
	v_fmac_f64_e32 v[20:21], -0.5, v[18:19]
	v_add3_u32 v180, 0, v16, v17
	v_add_f64 v[16:17], v[104:105], -v[70:71]
	v_add_f64 v[14:15], v[14:15], v[58:59]
	v_fma_f64 v[18:19], s[2:3], v[16:17], v[20:21]
	ds_write2_b64 v180, v[14:15], v[18:19] offset1:3
	v_fmac_f64_e32 v[20:21], s[6:7], v[16:17]
	v_mul_u32_u24_e32 v14, 0x48, v130
	v_lshlrev_b32_sdwa v15, v172, v131 dst_sel:DWORD dst_unused:UNUSED_PAD src0_sel:DWORD src1_sel:BYTE_0
	v_add_f64 v[16:17], v[64:65], v[98:99]
	v_add3_u32 v181, 0, v14, v15
	v_add_f64 v[14:15], v[10:11], v[64:65]
	v_fma_f64 v[10:11], -0.5, v[16:17], v[10:11]
	v_add_f64 v[16:17], v[72:73], -v[100:101]
	v_add_f64 v[14:15], v[14:15], v[98:99]
	v_fma_f64 v[18:19], s[2:3], v[16:17], v[10:11]
	v_fmac_f64_e32 v[10:11], s[6:7], v[16:17]
	ds_write_b64 v180, v[20:21] offset:48
	ds_write2_b64 v181, v[14:15], v[18:19] offset1:3
	v_add_f64 v[14:15], v[12:13], v[76:77]
	v_add_f64 v[16:17], v[76:77], v[60:61]
	ds_write_b64 v181, v[10:11] offset:48
	v_mul_u32_u24_e32 v10, 0x48, v140
	v_lshlrev_b32_sdwa v11, v172, v141 dst_sel:DWORD dst_unused:UNUSED_PAD src0_sel:DWORD src1_sel:BYTE_0
	v_fmac_f64_e32 v[12:13], -0.5, v[16:17]
	v_add3_u32 v140, 0, v10, v11
	v_add_f64 v[10:11], v[14:15], v[60:61]
	v_add_f64 v[14:15], v[102:103], -v[74:75]
	v_fma_f64 v[16:17], s[2:3], v[14:15], v[12:13]
	v_fmac_f64_e32 v[12:13], s[6:7], v[14:15]
	ds_write_b64 v140, v[12:13] offset:48
	v_add_f64 v[12:13], v[52:53], v[56:57]
	ds_write2_b64 v140, v[10:11], v[16:17] offset1:3
	v_add_f64 v[10:11], v[136:137], v[52:53]
	v_fmac_f64_e32 v[136:137], -0.5, v[12:13]
	v_perm_b32 v12, v194, v192, s12
	v_pk_mul_lo_u16 v16, v12, s0 op_sel_hi:[1,0]
	v_lshlrev_b32_e32 v12, 3, v193
	v_and_b32_e32 v13, 0xfff8, v16
	v_add3_u32 v141, 0, v13, v12
	v_add_f64 v[12:13], v[54:55], -v[62:63]
	v_add_f64 v[10:11], v[10:11], v[56:57]
	v_fma_f64 v[14:15], s[2:3], v[12:13], v[136:137]
	v_fmac_f64_e32 v[136:137], s[6:7], v[12:13]
	v_add_f64 v[12:13], v[66:67], v[48:49]
	ds_write2_b64 v141, v[10:11], v[14:15] offset1:3
	v_add_f64 v[10:11], v[132:133], v[66:67]
	v_fmac_f64_e32 v[132:133], -0.5, v[12:13]
	v_lshrrev_b32_e32 v12, 16, v16
	v_lshlrev_b32_e32 v13, 3, v195
	ds_write_b64 v141, v[136:137] offset:48
	v_add3_u32 v136, 0, v12, v13
	v_add_f64 v[12:13], v[78:79], -v[50:51]
	v_add_f64 v[10:11], v[10:11], v[48:49]
	v_fma_f64 v[14:15], s[2:3], v[12:13], v[132:133]
	v_fmac_f64_e32 v[132:133], s[6:7], v[12:13]
	v_add_f64 v[12:13], v[68:69], v[112:113]
	ds_write2_b64 v136, v[10:11], v[14:15] offset1:3
	v_add_f64 v[10:11], v[124:125], v[68:69]
	v_fmac_f64_e32 v[124:125], -0.5, v[12:13]
	v_perm_b32 v12, v200, v196, s12
	v_pk_mul_lo_u16 v16, v12, s0 op_sel_hi:[1,0]
	v_lshlrev_b32_e32 v12, 3, v197
	v_and_b32_e32 v13, 0xfff8, v16
	ds_write_b64 v136, v[132:133] offset:48
	v_add3_u32 v132, 0, v13, v12
	v_add_f64 v[12:13], v[92:93], -v[118:119]
	v_add_f64 v[10:11], v[10:11], v[112:113]
	v_fma_f64 v[14:15], s[2:3], v[12:13], v[124:125]
	v_fmac_f64_e32 v[124:125], s[6:7], v[12:13]
	v_add_f64 v[12:13], v[90:91], v[110:111]
	ds_write2_b64 v132, v[10:11], v[14:15] offset1:3
	v_add_f64 v[10:11], v[108:109], v[90:91]
	v_fmac_f64_e32 v[108:109], -0.5, v[12:13]
	v_lshrrev_b32_e32 v12, 16, v16
	v_lshlrev_b32_e32 v13, 3, v201
	v_add3_u32 v133, 0, v12, v13
	v_add_f64 v[12:13], v[94:95], -v[114:115]
	v_add_f64 v[10:11], v[10:11], v[110:111]
	v_fma_f64 v[14:15], s[2:3], v[12:13], v[108:109]
	ds_write_b64 v132, v[124:125] offset:48
	ds_write2_b64 v133, v[10:11], v[14:15] offset1:3
	v_add_f64 v[14:15], v[120:121], v[178:179]
	v_fmac_f64_e32 v[108:109], s[6:7], v[12:13]
	v_mul_u32_u24_e32 v12, 0x48, v198
	v_lshlrev_b32_e32 v13, 3, v199
	v_add_f64 v[10:11], v[0:1], v[120:121]
	v_fmac_f64_e32 v[0:1], -0.5, v[14:15]
	v_add3_u32 v137, 0, v12, v13
	v_add_f64 v[12:13], v[122:123], -v[138:139]
	v_fma_f64 v[14:15], s[2:3], v[12:13], v[0:1]
	v_fmac_f64_e32 v[0:1], s[6:7], v[12:13]
	ds_write_b64 v133, v[108:109] offset:48
	ds_write_b64 v137, v[0:1] offset:48
	v_add_f64 v[0:1], v[156:157], v[2:3]
	v_add_f64 v[108:109], v[0:1], v[6:7]
	;; [unrolled: 1-line block ×3, first 2 shown]
	v_add_f64 v[124:125], v[4:5], -v[8:9]
	v_fma_f64 v[128:129], -0.5, v[0:1], v[156:157]
	v_add_f64 v[10:11], v[10:11], v[178:179]
	v_fma_f64 v[130:131], s[6:7], v[124:125], v[128:129]
	ds_write2_b64 v137, v[10:11], v[14:15] offset1:3
	s_waitcnt lgkmcnt(0)
	; wave barrier
	s_waitcnt lgkmcnt(0)
	ds_read_b64 v[82:83], v154
	ds_read_b64 v[80:81], v171
	;; [unrolled: 1-line block ×4, first 2 shown]
	ds_read_b64 v[88:89], v163 offset:13104
	ds_read2_b64 v[8:11], v163 offset1:63
	ds_read2_b64 v[0:3], v166 offset0:120 offset1:183
	ds_read2_b64 v[40:43], v165 offset0:110 offset1:173
	;; [unrolled: 1-line block ×10, first 2 shown]
	s_waitcnt lgkmcnt(0)
	; wave barrier
	s_waitcnt lgkmcnt(0)
	ds_write2_b64 v173, v[108:109], v[130:131] offset1:3
	v_add_f64 v[108:109], v[158:159], v[104:105]
	v_add_f64 v[108:109], v[108:109], v[70:71]
	v_add_f64 v[70:71], v[104:105], v[70:71]
	v_fmac_f64_e32 v[158:159], -0.5, v[70:71]
	v_add_f64 v[58:59], v[96:97], -v[58:59]
	v_fmac_f64_e32 v[128:129], s[2:3], v[124:125]
	v_fma_f64 v[70:71], s[6:7], v[58:59], v[158:159]
	ds_write_b64 v173, v[128:129] offset:48
	ds_write2_b64 v180, v[108:109], v[70:71] offset1:3
	v_add_f64 v[70:71], v[72:73], v[100:101]
	v_fmac_f64_e32 v[158:159], s[2:3], v[58:59]
	v_add_f64 v[58:59], v[174:175], v[72:73]
	v_add_f64 v[64:65], v[64:65], -v[98:99]
	v_fma_f64 v[70:71], -0.5, v[70:71], v[174:175]
	v_add_f64 v[58:59], v[58:59], v[100:101]
	v_fma_f64 v[72:73], s[6:7], v[64:65], v[70:71]
	v_fmac_f64_e32 v[70:71], s[2:3], v[64:65]
	v_add_f64 v[64:65], v[102:103], v[74:75]
	ds_write_b64 v180, v[158:159] offset:48
	ds_write2_b64 v181, v[58:59], v[72:73] offset1:3
	v_add_f64 v[58:59], v[176:177], v[102:103]
	v_fmac_f64_e32 v[176:177], -0.5, v[64:65]
	v_add_f64 v[60:61], v[76:77], -v[60:61]
	v_add_f64 v[58:59], v[58:59], v[74:75]
	v_fma_f64 v[64:65], s[6:7], v[60:61], v[176:177]
	v_fmac_f64_e32 v[176:177], s[2:3], v[60:61]
	v_add_f64 v[60:61], v[122:123], v[138:139]
	ds_write_b64 v181, v[70:71] offset:48
	ds_write2_b64 v140, v[58:59], v[64:65] offset1:3
	v_add_f64 v[58:59], v[44:45], v[122:123]
	v_fmac_f64_e32 v[44:45], -0.5, v[60:61]
	v_add_f64 v[60:61], v[120:121], -v[178:179]
	v_fma_f64 v[64:65], s[6:7], v[60:61], v[44:45]
	v_fmac_f64_e32 v[44:45], s[2:3], v[60:61]
	v_add_f64 v[60:61], v[126:127], v[54:55]
	v_add_f64 v[54:55], v[54:55], v[62:63]
	v_fmac_f64_e32 v[126:127], -0.5, v[54:55]
	v_add_f64 v[52:53], v[52:53], -v[56:57]
	v_fma_f64 v[54:55], s[6:7], v[52:53], v[126:127]
	v_fmac_f64_e32 v[126:127], s[2:3], v[52:53]
	v_add_f64 v[52:53], v[116:117], v[78:79]
	v_add_f64 v[52:53], v[52:53], v[50:51]
	;; [unrolled: 1-line block ×3, first 2 shown]
	v_fmac_f64_e32 v[116:117], -0.5, v[50:51]
	v_add_f64 v[48:49], v[66:67], -v[48:49]
	v_add_f64 v[56:57], v[92:93], v[118:119]
	v_fma_f64 v[50:51], s[6:7], v[48:49], v[116:117]
	v_fmac_f64_e32 v[116:117], s[2:3], v[48:49]
	v_add_f64 v[48:49], v[106:107], v[92:93]
	v_fmac_f64_e32 v[106:107], -0.5, v[56:57]
	v_add_f64 v[56:57], v[68:69], -v[112:113]
	v_add_f64 v[66:67], v[94:95], v[114:115]
	v_add_f64 v[60:61], v[60:61], v[62:63]
	v_fma_f64 v[62:63], s[6:7], v[56:57], v[106:107]
	v_fmac_f64_e32 v[106:107], s[2:3], v[56:57]
	v_add_f64 v[56:57], v[46:47], v[94:95]
	v_fmac_f64_e32 v[46:47], -0.5, v[66:67]
	v_add_f64 v[66:67], v[90:91], -v[110:111]
	v_add_f64 v[58:59], v[58:59], v[138:139]
	v_add_f64 v[48:49], v[48:49], v[118:119]
	;; [unrolled: 1-line block ×3, first 2 shown]
	v_fma_f64 v[68:69], s[6:7], v[66:67], v[46:47]
	v_fmac_f64_e32 v[46:47], s[2:3], v[66:67]
	ds_write_b64 v140, v[176:177] offset:48
	ds_write2_b64 v141, v[60:61], v[54:55] offset1:3
	ds_write_b64 v141, v[126:127] offset:48
	ds_write2_b64 v136, v[52:53], v[50:51] offset1:3
	;; [unrolled: 2-line block ×5, first 2 shown]
	ds_write_b64 v137, v[44:45] offset:48
	v_mov_b32_e32 v64, 57
	v_mul_lo_u16_sdwa v44, v160, v64 dst_sel:DWORD dst_unused:UNUSED_PAD src0_sel:BYTE_0 src1_sel:DWORD
	v_lshrrev_b16_e32 v92, 9, v44
	v_mul_lo_u16_e32 v44, 9, v92
	v_sub_u16_e32 v93, v160, v44
	v_lshlrev_b32_sdwa v72, v152, v93 dst_sel:DWORD dst_unused:UNUSED_PAD src0_sel:DWORD src1_sel:BYTE_0
	s_waitcnt lgkmcnt(0)
	; wave barrier
	s_waitcnt lgkmcnt(0)
	global_load_dwordx4 v[44:47], v72, s[4:5] offset:112
	v_mul_lo_u16_sdwa v48, v153, v64 dst_sel:DWORD dst_unused:UNUSED_PAD src0_sel:BYTE_0 src1_sel:DWORD
	v_lshrrev_b16_e32 v94, 9, v48
	v_mul_lo_u16_e32 v48, 9, v94
	v_sub_u16_e32 v95, v153, v48
	v_lshlrev_b32_sdwa v56, v152, v95 dst_sel:DWORD dst_unused:UNUSED_PAD src0_sel:DWORD src1_sel:BYTE_0
	global_load_dwordx4 v[48:51], v56, s[4:5] offset:112
	global_load_dwordx4 v[52:55], v56, s[4:5] offset:96
	v_mul_lo_u16_sdwa v56, v162, v64 dst_sel:DWORD dst_unused:UNUSED_PAD src0_sel:BYTE_0 src1_sel:DWORD
	v_lshrrev_b16_e32 v96, 9, v56
	v_mul_lo_u16_e32 v56, 9, v96
	v_sub_u16_e32 v97, v162, v56
	v_lshlrev_b32_sdwa v65, v152, v97 dst_sel:DWORD dst_unused:UNUSED_PAD src0_sel:DWORD src1_sel:BYTE_0
	global_load_dwordx4 v[60:63], v65, s[4:5] offset:96
	global_load_dwordx4 v[56:59], v65, s[4:5] offset:112
	v_mul_lo_u16_sdwa v64, v161, v64 dst_sel:DWORD dst_unused:UNUSED_PAD src0_sel:BYTE_0 src1_sel:DWORD
	v_lshrrev_b16_e32 v140, 9, v64
	v_mul_lo_u16_e32 v64, 9, v140
	v_sub_u16_e32 v141, v161, v64
	v_lshlrev_b32_sdwa v73, v152, v141 dst_sel:DWORD dst_unused:UNUSED_PAD src0_sel:DWORD src1_sel:BYTE_0
	s_mov_b32 s0, 0xe38f
	global_load_dwordx4 v[64:67], v73, s[4:5] offset:112
	global_load_dwordx4 v[68:71], v73, s[4:5] offset:96
	v_mul_u32_u24_sdwa v73, v149, s0 dst_sel:DWORD dst_unused:UNUSED_PAD src0_sel:WORD_0 src1_sel:DWORD
	v_lshrrev_b32_e32 v156, 19, v73
	v_mul_lo_u16_e32 v73, 9, v156
	v_sub_u16_e32 v157, v149, v73
	v_lshlrev_b32_e32 v73, 5, v157
	global_load_dwordx4 v[110:113], v73, s[4:5] offset:96
	global_load_dwordx4 v[114:117], v73, s[4:5] offset:112
	v_mul_u32_u24_sdwa v73, v148, s0 dst_sel:DWORD dst_unused:UNUSED_PAD src0_sel:WORD_0 src1_sel:DWORD
	v_lshrrev_b32_e32 v158, 19, v73
	v_mul_lo_u16_e32 v73, 9, v158
	v_sub_u16_e32 v159, v148, v73
	v_lshlrev_b32_e32 v73, 5, v159
	;; [unrolled: 7-line block ×5, first 2 shown]
	global_load_dwordx4 v[178:181], v73, s[4:5] offset:96
	ds_read2_b64 v[100:103], v165 offset0:110 offset1:173
	global_load_dwordx4 v[76:79], v73, s[4:5] offset:112
	s_nop 0
	global_load_dwordx4 v[72:75], v72, s[4:5] offset:96
	s_movk_i32 s0, 0x2f69
	s_waitcnt vmcnt(17) lgkmcnt(0)
	v_mul_f64 v[90:91], v[100:101], v[46:47]
	v_fma_f64 v[90:91], v[40:41], v[44:45], -v[90:91]
	v_mul_f64 v[40:41], v[40:41], v[46:47]
	v_fmac_f64_e32 v[40:41], v[100:101], v[44:45]
	ds_read2_b64 v[44:47], v168 offset0:118 offset1:181
	s_waitcnt vmcnt(16)
	v_mul_f64 v[98:99], v[102:103], v[50:51]
	v_fma_f64 v[98:99], v[42:43], v[48:49], -v[98:99]
	v_mul_f64 v[100:101], v[42:43], v[50:51]
	s_waitcnt vmcnt(15)
	v_mul_f64 v[106:107], v[36:37], v[54:55]
	s_waitcnt lgkmcnt(0)
	v_mul_f64 v[42:43], v[44:45], v[54:55]
	v_fmac_f64_e32 v[100:101], v[102:103], v[48:49]
	v_fma_f64 v[102:103], v[36:37], v[52:53], -v[42:43]
	v_fmac_f64_e32 v[106:107], v[44:45], v[52:53]
	ds_read2_b64 v[42:45], v164 offset0:108 offset1:171
	s_waitcnt vmcnt(14)
	v_mul_f64 v[36:37], v[46:47], v[62:63]
	v_fma_f64 v[50:51], v[38:39], v[60:61], -v[36:37]
	v_mul_f64 v[54:55], v[38:39], v[62:63]
	ds_read2_b64 v[36:39], v144 offset0:116 offset1:179
	v_fmac_f64_e32 v[54:55], v[46:47], v[60:61]
	s_waitcnt vmcnt(13) lgkmcnt(1)
	v_mul_f64 v[46:47], v[42:43], v[58:59]
	v_fma_f64 v[104:105], v[32:33], v[56:57], -v[46:47]
	v_mul_f64 v[108:109], v[32:33], v[58:59]
	s_waitcnt vmcnt(12)
	v_mul_f64 v[32:33], v[44:45], v[66:67]
	v_fma_f64 v[48:49], v[34:35], v[64:65], -v[32:33]
	s_waitcnt vmcnt(11) lgkmcnt(0)
	v_mul_f64 v[32:33], v[36:37], v[70:71]
	v_fmac_f64_e32 v[108:109], v[42:43], v[56:57]
	v_mul_f64 v[56:57], v[34:35], v[66:67]
	v_fma_f64 v[58:59], v[28:29], v[68:69], -v[32:33]
	ds_read2_b64 v[32:35], v169 offset0:106 offset1:169
	v_mul_f64 v[66:67], v[28:29], v[70:71]
	s_waitcnt vmcnt(10)
	v_mul_f64 v[28:29], v[38:39], v[112:113]
	v_fma_f64 v[52:53], v[30:31], v[110:111], -v[28:29]
	v_fmac_f64_e32 v[56:57], v[44:45], v[64:65]
	s_waitcnt vmcnt(9) lgkmcnt(0)
	v_mul_f64 v[28:29], v[32:33], v[116:117]
	v_mul_f64 v[60:61], v[30:31], v[112:113]
	v_fma_f64 v[64:65], v[24:25], v[114:115], -v[28:29]
	ds_read2_b64 v[28:31], v167 offset0:114 offset1:177
	v_mul_f64 v[70:71], v[24:25], v[116:117]
	s_waitcnt vmcnt(8)
	v_mul_f64 v[24:25], v[34:35], v[120:121]
	v_fma_f64 v[62:63], v[26:27], v[118:119], -v[24:25]
	v_fmac_f64_e32 v[66:67], v[36:37], v[68:69]
	s_waitcnt vmcnt(7) lgkmcnt(0)
	v_mul_f64 v[24:25], v[28:29], v[124:125]
	v_fmac_f64_e32 v[60:61], v[38:39], v[110:111]
	v_mul_f64 v[68:69], v[26:27], v[120:121]
	v_fma_f64 v[110:111], v[20:21], v[122:123], -v[24:25]
	ds_read2_b64 v[24:27], v146 offset0:104 offset1:167
	v_mul_f64 v[116:117], v[20:21], v[124:125]
	s_waitcnt vmcnt(6)
	v_mul_f64 v[20:21], v[30:31], v[128:129]
	v_fmac_f64_e32 v[70:71], v[32:33], v[114:115]
	v_fma_f64 v[114:115], v[22:23], v[126:127], -v[20:21]
	s_waitcnt vmcnt(5) lgkmcnt(0)
	v_mul_f64 v[20:21], v[24:25], v[132:133]
	v_mul_f64 v[120:121], v[22:23], v[128:129]
	v_fma_f64 v[124:125], v[16:17], v[130:131], -v[20:21]
	ds_read2_b64 v[20:23], v170 offset0:112 offset1:175
	v_mul_f64 v[132:133], v[16:17], v[132:133]
	s_waitcnt vmcnt(4)
	v_mul_f64 v[16:17], v[26:27], v[138:139]
	v_fmac_f64_e32 v[68:69], v[34:35], v[118:119]
	v_fma_f64 v[118:119], v[18:19], v[136:137], -v[16:17]
	s_waitcnt vmcnt(3) lgkmcnt(0)
	v_mul_f64 v[16:17], v[20:21], v[176:177]
	v_fmac_f64_e32 v[120:121], v[30:31], v[126:127]
	v_mul_f64 v[126:127], v[18:19], v[138:139]
	v_fma_f64 v[128:129], v[12:13], v[174:175], -v[16:17]
	v_mul_f64 v[138:139], v[12:13], v[176:177]
	s_waitcnt vmcnt(2)
	v_mul_f64 v[12:13], v[22:23], v[180:181]
	v_fmac_f64_e32 v[116:117], v[28:29], v[122:123]
	v_fma_f64 v[122:123], v[14:15], v[178:179], -v[12:13]
	ds_read_b64 v[12:13], v163 offset:13104
	v_fmac_f64_e32 v[126:127], v[26:27], v[136:137]
	v_fmac_f64_e32 v[138:139], v[20:21], v[174:175]
	ds_read_b64 v[112:113], v154
	ds_read2_b64 v[44:47], v166 offset0:120 offset1:183
	ds_read_b64 v[136:137], v151
	ds_read_b64 v[174:175], v150
	v_fmac_f64_e32 v[132:133], v[24:25], v[130:131]
	v_mul_f64 v[130:131], v[14:15], v[180:181]
	v_fmac_f64_e32 v[130:131], v[22:23], v[178:179]
	s_waitcnt vmcnt(1)
	v_mul_f64 v[178:179], v[88:89], v[78:79]
	s_waitcnt lgkmcnt(4)
	v_mul_f64 v[14:15], v[12:13], v[78:79]
	v_fmac_f64_e32 v[178:179], v[12:13], v[76:77]
	s_waitcnt vmcnt(0) lgkmcnt(2)
	v_mul_f64 v[12:13], v[46:47], v[74:75]
	v_fma_f64 v[12:13], v[2:3], v[72:73], -v[12:13]
	v_mul_f64 v[2:3], v[2:3], v[74:75]
	v_fma_f64 v[176:177], v[88:89], v[76:77], -v[14:15]
	v_fmac_f64_e32 v[2:3], v[46:47], v[72:73]
	v_mul_u32_u24_e32 v14, 0xd8, v92
	v_lshlrev_b32_sdwa v15, v172, v93 dst_sel:DWORD dst_unused:UNUSED_PAD src0_sel:DWORD src1_sel:BYTE_0
	v_add_f64 v[16:17], v[12:13], v[90:91]
	v_add3_u32 v180, 0, v14, v15
	v_add_f64 v[14:15], v[8:9], v[12:13]
	v_fma_f64 v[8:9], -0.5, v[16:17], v[8:9]
	v_add_f64 v[16:17], v[2:3], -v[40:41]
	v_add_f64 v[14:15], v[14:15], v[90:91]
	v_fma_f64 v[18:19], s[2:3], v[16:17], v[8:9]
	v_fmac_f64_e32 v[8:9], s[6:7], v[16:17]
	ds_read_b64 v[46:47], v171
	ds_read2_b64 v[72:75], v163 offset1:63
	ds_read2_b64 v[76:79], v163 offset0:126 offset1:189
	s_waitcnt lgkmcnt(0)
	; wave barrier
	s_waitcnt lgkmcnt(0)
	ds_write2_b64 v180, v[14:15], v[18:19] offset1:9
	v_add_f64 v[14:15], v[10:11], v[102:103]
	v_add_f64 v[16:17], v[102:103], v[98:99]
	ds_write_b64 v180, v[8:9] offset:144
	v_mul_u32_u24_e32 v8, 0xd8, v94
	v_lshlrev_b32_sdwa v9, v172, v95 dst_sel:DWORD dst_unused:UNUSED_PAD src0_sel:DWORD src1_sel:BYTE_0
	v_fmac_f64_e32 v[10:11], -0.5, v[16:17]
	v_add3_u32 v181, 0, v8, v9
	v_add_f64 v[8:9], v[14:15], v[98:99]
	v_add_f64 v[14:15], v[106:107], -v[100:101]
	v_fma_f64 v[16:17], s[2:3], v[14:15], v[10:11]
	v_fmac_f64_e32 v[10:11], s[6:7], v[14:15]
	ds_write2_b64 v181, v[8:9], v[16:17] offset1:9
	ds_write_b64 v181, v[10:11] offset:144
	v_mul_u32_u24_e32 v8, 0xd8, v96
	v_lshlrev_b32_sdwa v9, v172, v97 dst_sel:DWORD dst_unused:UNUSED_PAD src0_sel:DWORD src1_sel:BYTE_0
	v_add_f64 v[10:11], v[50:51], v[104:105]
	v_add3_u32 v187, 0, v8, v9
	v_add_f64 v[8:9], v[4:5], v[50:51]
	v_fma_f64 v[4:5], -0.5, v[10:11], v[4:5]
	v_add_f64 v[10:11], v[54:55], -v[108:109]
	v_add_f64 v[8:9], v[8:9], v[104:105]
	v_fma_f64 v[14:15], s[2:3], v[10:11], v[4:5]
	v_fmac_f64_e32 v[4:5], s[6:7], v[10:11]
	ds_write2_b64 v187, v[8:9], v[14:15] offset1:9
	v_add_f64 v[8:9], v[6:7], v[58:59]
	v_add_f64 v[10:11], v[58:59], v[48:49]
	ds_write_b64 v187, v[4:5] offset:144
	v_mul_u32_u24_e32 v4, 0xd8, v140
	v_lshlrev_b32_sdwa v5, v172, v141 dst_sel:DWORD dst_unused:UNUSED_PAD src0_sel:DWORD src1_sel:BYTE_0
	v_fmac_f64_e32 v[6:7], -0.5, v[10:11]
	v_add3_u32 v140, 0, v4, v5
	v_add_f64 v[4:5], v[8:9], v[48:49]
	v_add_f64 v[8:9], v[66:67], -v[56:57]
	v_fma_f64 v[10:11], s[2:3], v[8:9], v[6:7]
	v_fmac_f64_e32 v[6:7], s[6:7], v[8:9]
	ds_write_b64 v140, v[6:7] offset:144
	v_add_f64 v[6:7], v[52:53], v[64:65]
	ds_write2_b64 v140, v[4:5], v[10:11] offset1:9
	v_add_f64 v[4:5], v[86:87], v[52:53]
	v_fmac_f64_e32 v[86:87], -0.5, v[6:7]
	v_mul_u32_u24_e32 v6, 0xd8, v156
	v_lshlrev_b32_e32 v7, 3, v157
	v_add3_u32 v141, 0, v6, v7
	v_add_f64 v[6:7], v[60:61], -v[70:71]
	v_add_f64 v[4:5], v[4:5], v[64:65]
	v_fma_f64 v[8:9], s[2:3], v[6:7], v[86:87]
	v_fmac_f64_e32 v[86:87], s[6:7], v[6:7]
	v_add_f64 v[6:7], v[110:111], v[62:63]
	ds_write2_b64 v141, v[4:5], v[8:9] offset1:9
	v_add_f64 v[4:5], v[84:85], v[110:111]
	v_fmac_f64_e32 v[84:85], -0.5, v[6:7]
	v_mul_u32_u24_e32 v6, 0xd8, v158
	v_lshlrev_b32_e32 v7, 3, v159
	ds_write_b64 v141, v[86:87] offset:144
	v_add3_u32 v86, 0, v6, v7
	v_add_f64 v[6:7], v[116:117], -v[68:69]
	v_add_f64 v[4:5], v[4:5], v[62:63]
	v_fma_f64 v[8:9], s[2:3], v[6:7], v[84:85]
	v_fmac_f64_e32 v[84:85], s[6:7], v[6:7]
	v_add_f64 v[6:7], v[114:115], v[124:125]
	ds_write2_b64 v86, v[4:5], v[8:9] offset1:9
	v_add_f64 v[4:5], v[82:83], v[114:115]
	v_fmac_f64_e32 v[82:83], -0.5, v[6:7]
	v_mul_u32_u24_e32 v6, 0xd8, v173
	v_lshlrev_b32_e32 v7, 3, v182
	v_add3_u32 v87, 0, v6, v7
	v_add_f64 v[6:7], v[120:121], -v[132:133]
	v_add_f64 v[4:5], v[4:5], v[124:125]
	v_fma_f64 v[8:9], s[2:3], v[6:7], v[82:83]
	v_fmac_f64_e32 v[82:83], s[6:7], v[6:7]
	v_add_f64 v[6:7], v[128:129], v[118:119]
	ds_write_b64 v86, v[84:85] offset:144
	ds_write2_b64 v87, v[4:5], v[8:9] offset1:9
	v_add_f64 v[4:5], v[80:81], v[128:129]
	v_fmac_f64_e32 v[80:81], -0.5, v[6:7]
	v_mul_u32_u24_e32 v6, 0xd8, v183
	v_lshlrev_b32_e32 v7, 3, v184
	v_add3_u32 v156, 0, v6, v7
	v_add_f64 v[6:7], v[138:139], -v[126:127]
	v_add_f64 v[4:5], v[4:5], v[118:119]
	v_fma_f64 v[8:9], s[2:3], v[6:7], v[80:81]
	v_fmac_f64_e32 v[80:81], s[6:7], v[6:7]
	v_add_f64 v[6:7], v[122:123], v[176:177]
	ds_write_b64 v87, v[82:83] offset:144
	ds_write2_b64 v156, v[4:5], v[8:9] offset1:9
	v_add_f64 v[4:5], v[0:1], v[122:123]
	v_fmac_f64_e32 v[0:1], -0.5, v[6:7]
	v_mul_u32_u24_e32 v6, 0xd8, v185
	v_lshlrev_b32_e32 v7, 3, v186
	v_add3_u32 v157, 0, v6, v7
	v_add_f64 v[6:7], v[130:131], -v[178:179]
	v_fma_f64 v[8:9], s[2:3], v[6:7], v[0:1]
	v_fmac_f64_e32 v[0:1], s[6:7], v[6:7]
	ds_write_b64 v156, v[80:81] offset:144
	ds_write_b64 v157, v[0:1] offset:144
	v_add_f64 v[0:1], v[72:73], v[2:3]
	v_add_f64 v[80:81], v[0:1], v[40:41]
	;; [unrolled: 1-line block ×3, first 2 shown]
	v_add_f64 v[82:83], v[12:13], -v[90:91]
	v_fma_f64 v[72:73], -0.5, v[0:1], v[72:73]
	v_add_f64 v[4:5], v[4:5], v[176:177]
	v_fma_f64 v[84:85], s[6:7], v[82:83], v[72:73]
	ds_write2_b64 v157, v[4:5], v[8:9] offset1:9
	s_waitcnt lgkmcnt(0)
	; wave barrier
	s_waitcnt lgkmcnt(0)
	ds_read_b64 v[90:91], v154
	ds_read_b64 v[88:89], v171
	ds_read_b64 v[92:93], v151
	ds_read_b64 v[94:95], v150
	ds_read_b64 v[96:97], v163 offset:13104
	ds_read2_b64 v[8:11], v163 offset1:63
	ds_read2_b64 v[0:3], v166 offset0:120 offset1:183
	ds_read2_b64 v[40:43], v165 offset0:110 offset1:173
	;; [unrolled: 1-line block ×10, first 2 shown]
	s_waitcnt lgkmcnt(0)
	; wave barrier
	s_waitcnt lgkmcnt(0)
	ds_write2_b64 v180, v[80:81], v[84:85] offset1:9
	v_fmac_f64_e32 v[72:73], s[2:3], v[82:83]
	v_add_f64 v[80:81], v[106:107], v[100:101]
	ds_write_b64 v180, v[72:73] offset:144
	v_add_f64 v[72:73], v[74:75], v[106:107]
	v_fmac_f64_e32 v[74:75], -0.5, v[80:81]
	v_add_f64 v[80:81], v[102:103], -v[98:99]
	v_add_f64 v[72:73], v[72:73], v[100:101]
	v_fma_f64 v[82:83], s[6:7], v[80:81], v[74:75]
	ds_write2_b64 v181, v[72:73], v[82:83] offset1:9
	v_add_f64 v[72:73], v[76:77], v[54:55]
	v_add_f64 v[54:55], v[54:55], v[108:109]
	v_fmac_f64_e32 v[74:75], s[2:3], v[80:81]
	v_add_f64 v[50:51], v[50:51], -v[104:105]
	v_fma_f64 v[54:55], -0.5, v[54:55], v[76:77]
	ds_write_b64 v181, v[74:75] offset:144
	v_fma_f64 v[74:75], s[6:7], v[50:51], v[54:55]
	v_fmac_f64_e32 v[54:55], s[2:3], v[50:51]
	ds_write_b64 v187, v[54:55] offset:144
	v_add_f64 v[54:55], v[66:67], v[56:57]
	v_add_f64 v[50:51], v[78:79], v[66:67]
	v_fmac_f64_e32 v[78:79], -0.5, v[54:55]
	v_add_f64 v[48:49], v[58:59], -v[48:49]
	v_add_f64 v[72:73], v[72:73], v[108:109]
	v_add_f64 v[50:51], v[50:51], v[56:57]
	v_fma_f64 v[54:55], s[6:7], v[48:49], v[78:79]
	ds_write2_b64 v187, v[72:73], v[74:75] offset1:9
	ds_write2_b64 v140, v[50:51], v[54:55] offset1:9
	v_add_f64 v[50:51], v[60:61], v[70:71]
	v_fmac_f64_e32 v[78:79], s[2:3], v[48:49]
	v_add_f64 v[48:49], v[174:175], v[60:61]
	v_fmac_f64_e32 v[174:175], -0.5, v[50:51]
	v_add_f64 v[50:51], v[52:53], -v[64:65]
	v_add_f64 v[54:55], v[116:117], v[68:69]
	v_fma_f64 v[52:53], s[6:7], v[50:51], v[174:175]
	v_fmac_f64_e32 v[174:175], s[2:3], v[50:51]
	v_add_f64 v[50:51], v[136:137], v[116:117]
	v_fmac_f64_e32 v[136:137], -0.5, v[54:55]
	v_add_f64 v[54:55], v[110:111], -v[62:63]
	v_add_f64 v[58:59], v[120:121], v[132:133]
	v_fma_f64 v[56:57], s[6:7], v[54:55], v[136:137]
	;; [unrolled: 6-line block ×4, first 2 shown]
	v_fmac_f64_e32 v[46:47], s[2:3], v[62:63]
	v_add_f64 v[62:63], v[44:45], v[130:131]
	v_fmac_f64_e32 v[44:45], -0.5, v[66:67]
	v_add_f64 v[66:67], v[122:123], -v[176:177]
	v_add_f64 v[48:49], v[48:49], v[70:71]
	v_add_f64 v[50:51], v[50:51], v[68:69]
	;; [unrolled: 1-line block ×5, first 2 shown]
	v_fma_f64 v[68:69], s[6:7], v[66:67], v[44:45]
	v_fmac_f64_e32 v[44:45], s[2:3], v[66:67]
	ds_write_b64 v140, v[78:79] offset:144
	ds_write2_b64 v141, v[48:49], v[52:53] offset1:9
	ds_write_b64 v141, v[174:175] offset:144
	ds_write2_b64 v86, v[50:51], v[56:57] offset1:9
	;; [unrolled: 2-line block ×5, first 2 shown]
	ds_write_b64 v157, v[44:45] offset:144
	v_mov_b32_e32 v64, 19
	v_mul_lo_u16_sdwa v44, v160, v64 dst_sel:DWORD dst_unused:UNUSED_PAD src0_sel:BYTE_0 src1_sel:DWORD
	v_mul_lo_u16_sdwa v48, v153, v64 dst_sel:DWORD dst_unused:UNUSED_PAD src0_sel:BYTE_0 src1_sel:DWORD
	v_lshrrev_b16_e32 v156, 9, v44
	v_lshrrev_b16_e32 v158, 9, v48
	v_mul_lo_u16_e32 v44, 27, v156
	v_mul_lo_u16_e32 v48, 27, v158
	v_sub_u16_e32 v157, v160, v44
	v_sub_u16_e32 v159, v153, v48
	v_lshlrev_b32_sdwa v72, v152, v157 dst_sel:DWORD dst_unused:UNUSED_PAD src0_sel:DWORD src1_sel:BYTE_0
	v_lshlrev_b32_sdwa v56, v152, v159 dst_sel:DWORD dst_unused:UNUSED_PAD src0_sel:DWORD src1_sel:BYTE_0
	s_waitcnt lgkmcnt(0)
	; wave barrier
	s_waitcnt lgkmcnt(0)
	global_load_dwordx4 v[44:47], v72, s[4:5] offset:400
	global_load_dwordx4 v[48:51], v56, s[4:5] offset:400
	;; [unrolled: 1-line block ×3, first 2 shown]
	v_mul_lo_u16_sdwa v56, v162, v64 dst_sel:DWORD dst_unused:UNUSED_PAD src0_sel:BYTE_0 src1_sel:DWORD
	v_mul_lo_u16_sdwa v64, v161, v64 dst_sel:DWORD dst_unused:UNUSED_PAD src0_sel:BYTE_0 src1_sel:DWORD
	v_lshrrev_b16_e32 v173, 9, v56
	v_lshrrev_b16_e32 v175, 9, v64
	v_mul_lo_u16_e32 v56, 27, v173
	v_mul_lo_u16_e32 v64, 27, v175
	v_sub_u16_e32 v174, v162, v56
	v_sub_u16_e32 v176, v161, v64
	v_lshlrev_b32_sdwa v65, v152, v174 dst_sel:DWORD dst_unused:UNUSED_PAD src0_sel:DWORD src1_sel:BYTE_0
	v_lshlrev_b32_sdwa v73, v152, v176 dst_sel:DWORD dst_unused:UNUSED_PAD src0_sel:DWORD src1_sel:BYTE_0
	global_load_dwordx4 v[60:63], v65, s[4:5] offset:384
	global_load_dwordx4 v[56:59], v65, s[4:5] offset:400
	s_nop 0
	global_load_dwordx4 v[64:67], v73, s[4:5] offset:400
	global_load_dwordx4 v[68:71], v73, s[4:5] offset:384
	v_mul_u32_u24_sdwa v73, v149, s0 dst_sel:DWORD dst_unused:UNUSED_PAD src0_sel:WORD_0 src1_sel:DWORD
	v_sub_u16_sdwa v74, v149, v73 dst_sel:DWORD dst_unused:UNUSED_PAD src0_sel:DWORD src1_sel:WORD_1
	v_lshrrev_b16_e32 v74, 1, v74
	v_add_u16_sdwa v73, v74, v73 dst_sel:DWORD dst_unused:UNUSED_PAD src0_sel:DWORD src1_sel:WORD_1
	v_lshrrev_b16_e32 v178, 4, v73
	v_mul_lo_u16_e32 v73, 27, v178
	v_sub_u16_e32 v177, v149, v73
	v_lshlrev_b32_e32 v73, 5, v177
	global_load_dwordx4 v[80:83], v73, s[4:5] offset:384
	global_load_dwordx4 v[84:87], v73, s[4:5] offset:400
	v_mul_u32_u24_sdwa v73, v148, s0 dst_sel:DWORD dst_unused:UNUSED_PAD src0_sel:WORD_0 src1_sel:DWORD
	v_sub_u16_sdwa v74, v148, v73 dst_sel:DWORD dst_unused:UNUSED_PAD src0_sel:DWORD src1_sel:WORD_1
	v_lshrrev_b16_e32 v74, 1, v74
	v_add_u16_sdwa v73, v74, v73 dst_sel:DWORD dst_unused:UNUSED_PAD src0_sel:DWORD src1_sel:WORD_1
	v_lshrrev_b16_e32 v180, 4, v73
	v_mul_lo_u16_e32 v73, 27, v180
	v_sub_u16_e32 v179, v148, v73
	v_lshlrev_b32_e32 v73, 5, v179
	;; [unrolled: 10-line block ×5, first 2 shown]
	global_load_dwordx4 v[186:189], v73, s[4:5] offset:384
	ds_read2_b64 v[100:103], v165 offset0:110 offset1:173
	global_load_dwordx4 v[76:79], v73, s[4:5] offset:400
	s_nop 0
	global_load_dwordx4 v[72:75], v72, s[4:5] offset:384
	s_movk_i32 s0, 0x288
	s_waitcnt vmcnt(17) lgkmcnt(0)
	v_mul_f64 v[98:99], v[100:101], v[46:47]
	v_fma_f64 v[140:141], v[40:41], v[44:45], -v[98:99]
	v_mul_f64 v[40:41], v[40:41], v[46:47]
	v_fmac_f64_e32 v[40:41], v[100:101], v[44:45]
	ds_read2_b64 v[44:47], v168 offset0:118 offset1:181
	s_waitcnt vmcnt(16)
	v_mul_f64 v[98:99], v[102:103], v[50:51]
	v_fma_f64 v[98:99], v[42:43], v[48:49], -v[98:99]
	v_mul_f64 v[100:101], v[42:43], v[50:51]
	s_waitcnt vmcnt(15)
	v_mul_f64 v[106:107], v[36:37], v[54:55]
	s_waitcnt lgkmcnt(0)
	v_mul_f64 v[42:43], v[44:45], v[54:55]
	v_fmac_f64_e32 v[100:101], v[102:103], v[48:49]
	v_fma_f64 v[102:103], v[36:37], v[52:53], -v[42:43]
	v_fmac_f64_e32 v[106:107], v[44:45], v[52:53]
	ds_read2_b64 v[42:45], v164 offset0:108 offset1:171
	s_waitcnt vmcnt(14)
	v_mul_f64 v[36:37], v[46:47], v[62:63]
	v_fma_f64 v[54:55], v[38:39], v[60:61], -v[36:37]
	v_mul_f64 v[62:63], v[38:39], v[62:63]
	ds_read2_b64 v[36:39], v144 offset0:116 offset1:179
	v_fmac_f64_e32 v[62:63], v[46:47], v[60:61]
	s_waitcnt vmcnt(13) lgkmcnt(1)
	v_mul_f64 v[46:47], v[42:43], v[58:59]
	v_fma_f64 v[104:105], v[32:33], v[56:57], -v[46:47]
	v_mul_f64 v[108:109], v[32:33], v[58:59]
	s_waitcnt vmcnt(12)
	v_mul_f64 v[32:33], v[44:45], v[66:67]
	v_fma_f64 v[52:53], v[34:35], v[64:65], -v[32:33]
	s_waitcnt vmcnt(11) lgkmcnt(0)
	v_mul_f64 v[32:33], v[36:37], v[70:71]
	v_mul_f64 v[58:59], v[34:35], v[66:67]
	v_fma_f64 v[60:61], v[28:29], v[68:69], -v[32:33]
	ds_read2_b64 v[32:35], v169 offset0:106 offset1:169
	v_mul_f64 v[70:71], v[28:29], v[70:71]
	s_waitcnt vmcnt(10)
	v_mul_f64 v[28:29], v[38:39], v[82:83]
	v_fmac_f64_e32 v[108:109], v[42:43], v[56:57]
	v_fma_f64 v[56:57], v[30:31], v[80:81], -v[28:29]
	s_waitcnt vmcnt(9) lgkmcnt(0)
	v_mul_f64 v[28:29], v[32:33], v[86:87]
	v_fmac_f64_e32 v[58:59], v[44:45], v[64:65]
	v_fmac_f64_e32 v[70:71], v[36:37], v[68:69]
	v_mul_f64 v[64:65], v[30:31], v[82:83]
	v_fma_f64 v[68:69], v[24:25], v[84:85], -v[28:29]
	ds_read2_b64 v[28:31], v167 offset0:114 offset1:177
	v_mul_f64 v[86:87], v[24:25], v[86:87]
	s_waitcnt vmcnt(8)
	v_mul_f64 v[24:25], v[34:35], v[112:113]
	v_fmac_f64_e32 v[86:87], v[32:33], v[84:85]
	v_fma_f64 v[66:67], v[26:27], v[110:111], -v[24:25]
	v_mul_f64 v[84:85], v[26:27], v[112:113]
	s_waitcnt vmcnt(7) lgkmcnt(0)
	v_mul_f64 v[24:25], v[28:29], v[116:117]
	v_fmac_f64_e32 v[84:85], v[34:35], v[110:111]
	v_fma_f64 v[110:111], v[20:21], v[114:115], -v[24:25]
	ds_read2_b64 v[24:27], v146 offset0:104 offset1:167
	v_mul_f64 v[116:117], v[20:21], v[116:117]
	s_waitcnt vmcnt(6)
	v_mul_f64 v[20:21], v[30:31], v[120:121]
	v_fmac_f64_e32 v[116:117], v[28:29], v[114:115]
	v_fma_f64 v[114:115], v[22:23], v[118:119], -v[20:21]
	s_waitcnt vmcnt(5) lgkmcnt(0)
	v_mul_f64 v[20:21], v[24:25], v[128:129]
	v_mul_f64 v[120:121], v[22:23], v[120:121]
	v_fma_f64 v[124:125], v[16:17], v[126:127], -v[20:21]
	ds_read2_b64 v[20:23], v170 offset0:112 offset1:175
	v_mul_f64 v[132:133], v[16:17], v[128:129]
	s_waitcnt vmcnt(4)
	v_mul_f64 v[16:17], v[26:27], v[138:139]
	v_fmac_f64_e32 v[120:121], v[30:31], v[118:119]
	v_fma_f64 v[118:119], v[18:19], v[136:137], -v[16:17]
	s_waitcnt vmcnt(3) lgkmcnt(0)
	v_mul_f64 v[16:17], v[20:21], v[184:185]
	v_fmac_f64_e32 v[132:133], v[24:25], v[126:127]
	v_mul_f64 v[126:127], v[18:19], v[138:139]
	v_fma_f64 v[128:129], v[12:13], v[182:183], -v[16:17]
	v_mul_f64 v[138:139], v[12:13], v[184:185]
	s_waitcnt vmcnt(2)
	v_mul_f64 v[12:13], v[22:23], v[188:189]
	v_fma_f64 v[122:123], v[14:15], v[186:187], -v[12:13]
	ds_read_b64 v[12:13], v163 offset:13104
	v_mul_f64 v[130:131], v[14:15], v[188:189]
	v_fmac_f64_e32 v[126:127], v[26:27], v[136:137]
	v_fmac_f64_e32 v[130:131], v[22:23], v[186:187]
	ds_read_b64 v[112:113], v154
	ds_read2_b64 v[48:51], v166 offset0:120 offset1:183
	ds_read_b64 v[136:137], v151
	ds_read_b64 v[186:187], v150
	s_waitcnt vmcnt(1) lgkmcnt(4)
	v_mul_f64 v[14:15], v[12:13], v[78:79]
	v_fma_f64 v[188:189], v[96:97], v[76:77], -v[14:15]
	v_mul_f64 v[96:97], v[96:97], v[78:79]
	v_fmac_f64_e32 v[96:97], v[12:13], v[76:77]
	s_waitcnt vmcnt(0) lgkmcnt(2)
	v_mul_f64 v[12:13], v[50:51], v[74:75]
	v_fma_f64 v[12:13], v[2:3], v[72:73], -v[12:13]
	v_mul_f64 v[2:3], v[2:3], v[74:75]
	v_fmac_f64_e32 v[2:3], v[50:51], v[72:73]
	v_mul_u32_u24_e32 v14, 0x288, v156
	v_lshlrev_b32_sdwa v15, v172, v157 dst_sel:DWORD dst_unused:UNUSED_PAD src0_sel:DWORD src1_sel:BYTE_0
	v_add_f64 v[16:17], v[12:13], v[140:141]
	v_add3_u32 v156, 0, v14, v15
	v_add_f64 v[14:15], v[8:9], v[12:13]
	v_fma_f64 v[8:9], -0.5, v[16:17], v[8:9]
	v_add_f64 v[16:17], v[2:3], -v[40:41]
	v_add_f64 v[14:15], v[14:15], v[140:141]
	v_fma_f64 v[18:19], s[2:3], v[16:17], v[8:9]
	v_fmac_f64_e32 v[8:9], s[6:7], v[16:17]
	v_fmac_f64_e32 v[138:139], v[20:21], v[182:183]
	ds_read_b64 v[50:51], v171
	ds_read2_b64 v[72:75], v163 offset1:63
	ds_read2_b64 v[182:185], v163 offset0:126 offset1:189
	s_waitcnt lgkmcnt(0)
	; wave barrier
	s_waitcnt lgkmcnt(0)
	ds_write2_b64 v156, v[14:15], v[18:19] offset1:27
	v_add_f64 v[14:15], v[10:11], v[102:103]
	v_add_f64 v[16:17], v[102:103], v[98:99]
	ds_write_b64 v156, v[8:9] offset:432
	v_mul_u32_u24_e32 v8, 0x288, v158
	v_lshlrev_b32_sdwa v9, v172, v159 dst_sel:DWORD dst_unused:UNUSED_PAD src0_sel:DWORD src1_sel:BYTE_0
	v_fmac_f64_e32 v[10:11], -0.5, v[16:17]
	v_add3_u32 v157, 0, v8, v9
	v_add_f64 v[8:9], v[14:15], v[98:99]
	v_add_f64 v[14:15], v[106:107], -v[100:101]
	v_fma_f64 v[16:17], s[2:3], v[14:15], v[10:11]
	v_fmac_f64_e32 v[10:11], s[6:7], v[14:15]
	ds_write2_b64 v157, v[8:9], v[16:17] offset1:27
	ds_write_b64 v157, v[10:11] offset:432
	v_mul_u32_u24_e32 v8, 0x288, v173
	v_lshlrev_b32_sdwa v9, v172, v174 dst_sel:DWORD dst_unused:UNUSED_PAD src0_sel:DWORD src1_sel:BYTE_0
	v_add_f64 v[10:11], v[54:55], v[104:105]
	v_add3_u32 v158, 0, v8, v9
	v_add_f64 v[8:9], v[4:5], v[54:55]
	v_fma_f64 v[4:5], -0.5, v[10:11], v[4:5]
	v_add_f64 v[10:11], v[62:63], -v[108:109]
	v_add_f64 v[8:9], v[8:9], v[104:105]
	v_fma_f64 v[14:15], s[2:3], v[10:11], v[4:5]
	v_fmac_f64_e32 v[4:5], s[6:7], v[10:11]
	ds_write2_b64 v158, v[8:9], v[14:15] offset1:27
	v_add_f64 v[8:9], v[6:7], v[60:61]
	v_add_f64 v[10:11], v[60:61], v[52:53]
	ds_write_b64 v158, v[4:5] offset:432
	v_mul_u32_u24_e32 v4, 0x288, v175
	v_lshlrev_b32_sdwa v5, v172, v176 dst_sel:DWORD dst_unused:UNUSED_PAD src0_sel:DWORD src1_sel:BYTE_0
	v_fmac_f64_e32 v[6:7], -0.5, v[10:11]
	v_add3_u32 v159, 0, v4, v5
	v_add_f64 v[4:5], v[8:9], v[52:53]
	v_add_f64 v[8:9], v[70:71], -v[58:59]
	v_fma_f64 v[10:11], s[2:3], v[8:9], v[6:7]
	v_fmac_f64_e32 v[6:7], s[6:7], v[8:9]
	ds_write_b64 v159, v[6:7] offset:432
	v_add_f64 v[6:7], v[56:57], v[68:69]
	ds_write2_b64 v159, v[4:5], v[10:11] offset1:27
	v_add_f64 v[4:5], v[94:95], v[56:57]
	v_fmac_f64_e32 v[94:95], -0.5, v[6:7]
	v_perm_b32 v6, v180, v178, s12
	v_pk_mul_lo_u16 v10, v6, s0 op_sel_hi:[1,0]
	v_fmac_f64_e32 v[64:65], v[38:39], v[80:81]
	v_lshlrev_b32_e32 v6, 3, v177
	v_and_b32_e32 v7, 0xfff8, v10
	v_add3_u32 v173, 0, v7, v6
	v_add_f64 v[6:7], v[64:65], -v[86:87]
	v_add_f64 v[4:5], v[4:5], v[68:69]
	v_fma_f64 v[8:9], s[2:3], v[6:7], v[94:95]
	v_fmac_f64_e32 v[94:95], s[6:7], v[6:7]
	v_add_f64 v[6:7], v[110:111], v[66:67]
	ds_write2_b64 v173, v[4:5], v[8:9] offset1:27
	v_add_f64 v[4:5], v[92:93], v[110:111]
	v_fmac_f64_e32 v[92:93], -0.5, v[6:7]
	v_lshrrev_b32_e32 v6, 16, v10
	v_lshlrev_b32_e32 v7, 3, v179
	ds_write_b64 v173, v[94:95] offset:432
	v_add3_u32 v94, 0, v6, v7
	v_add_f64 v[6:7], v[116:117], -v[84:85]
	v_add_f64 v[4:5], v[4:5], v[66:67]
	v_fma_f64 v[8:9], s[2:3], v[6:7], v[92:93]
	v_fmac_f64_e32 v[92:93], s[6:7], v[6:7]
	v_add_f64 v[6:7], v[114:115], v[124:125]
	ds_write2_b64 v94, v[4:5], v[8:9] offset1:27
	v_add_f64 v[4:5], v[90:91], v[114:115]
	v_fmac_f64_e32 v[90:91], -0.5, v[6:7]
	v_perm_b32 v6, v191, v181, s12
	v_pk_mul_lo_u16 v10, v6, s0 op_sel_hi:[1,0]
	v_lshlrev_b32_e32 v6, 3, v190
	v_and_b32_e32 v7, 0xfff8, v10
	ds_write_b64 v94, v[92:93] offset:432
	v_add3_u32 v92, 0, v7, v6
	v_add_f64 v[6:7], v[120:121], -v[132:133]
	v_add_f64 v[4:5], v[4:5], v[124:125]
	v_fma_f64 v[8:9], s[2:3], v[6:7], v[90:91]
	v_fmac_f64_e32 v[90:91], s[6:7], v[6:7]
	v_add_f64 v[6:7], v[128:129], v[118:119]
	ds_write2_b64 v92, v[4:5], v[8:9] offset1:27
	v_add_f64 v[4:5], v[88:89], v[128:129]
	v_fmac_f64_e32 v[88:89], -0.5, v[6:7]
	v_lshrrev_b32_e32 v6, 16, v10
	v_lshlrev_b32_e32 v7, 3, v192
	v_add3_u32 v93, 0, v6, v7
	v_add_f64 v[6:7], v[138:139], -v[126:127]
	v_add_f64 v[4:5], v[4:5], v[118:119]
	v_fma_f64 v[8:9], s[2:3], v[6:7], v[88:89]
	v_fmac_f64_e32 v[88:89], s[6:7], v[6:7]
	v_add_f64 v[6:7], v[122:123], v[188:189]
	ds_write_b64 v92, v[90:91] offset:432
	ds_write2_b64 v93, v[4:5], v[8:9] offset1:27
	v_add_f64 v[4:5], v[0:1], v[122:123]
	v_fmac_f64_e32 v[0:1], -0.5, v[6:7]
	v_mul_u32_u24_e32 v6, 0x288, v193
	v_lshlrev_b32_e32 v7, 3, v194
	v_add3_u32 v95, 0, v6, v7
	v_add_f64 v[6:7], v[130:131], -v[96:97]
	v_fma_f64 v[8:9], s[2:3], v[6:7], v[0:1]
	v_fmac_f64_e32 v[0:1], s[6:7], v[6:7]
	ds_write_b64 v93, v[88:89] offset:432
	ds_write_b64 v95, v[0:1] offset:432
	v_add_f64 v[0:1], v[72:73], v[2:3]
	v_add_f64 v[10:11], v[0:1], v[40:41]
	;; [unrolled: 1-line block ×3, first 2 shown]
	v_add_f64 v[88:89], v[12:13], -v[140:141]
	v_fma_f64 v[72:73], -0.5, v[0:1], v[72:73]
	v_add_f64 v[4:5], v[4:5], v[188:189]
	v_fma_f64 v[90:91], s[6:7], v[88:89], v[72:73]
	v_fmac_f64_e32 v[72:73], s[2:3], v[88:89]
	ds_write2_b64 v95, v[4:5], v[8:9] offset1:27
	s_waitcnt lgkmcnt(0)
	; wave barrier
	s_waitcnt lgkmcnt(0)
	ds_read_b64 v[76:77], v154
	ds_read_b64 v[78:79], v151
	;; [unrolled: 1-line block ×3, first 2 shown]
	ds_read_b64 v[82:83], v163 offset:13104
	ds_read2_b64 v[16:19], v163 offset1:63
	ds_read2_b64 v[0:3], v166 offset0:120 offset1:183
	ds_read2_b64 v[44:47], v165 offset0:110 offset1:173
	ds_read2_b64 v[40:43], v168 offset0:118 offset1:181
	ds_read2_b64 v[12:15], v163 offset0:126 offset1:189
	ds_read2_b64 v[36:39], v164 offset0:108 offset1:171
	ds_read2_b64 v[32:35], v144 offset0:116 offset1:179
	ds_read2_b64 v[28:31], v169 offset0:106 offset1:169
	ds_read2_b64 v[24:27], v167 offset0:114 offset1:177
	ds_read2_b64 v[20:23], v146 offset0:104 offset1:167
	ds_read_b64 v[4:5], v171
	ds_read2_b64 v[6:9], v170 offset0:112 offset1:175
	s_waitcnt lgkmcnt(0)
	; wave barrier
	s_waitcnt lgkmcnt(0)
	ds_write_b64 v156, v[72:73] offset:432
	v_add_f64 v[72:73], v[106:107], v[100:101]
	ds_write2_b64 v156, v[10:11], v[90:91] offset1:27
	v_add_f64 v[10:11], v[74:75], v[106:107]
	v_fmac_f64_e32 v[74:75], -0.5, v[72:73]
	v_add_f64 v[72:73], v[102:103], -v[98:99]
	v_add_f64 v[10:11], v[10:11], v[100:101]
	v_fma_f64 v[88:89], s[6:7], v[72:73], v[74:75]
	ds_write2_b64 v157, v[10:11], v[88:89] offset1:27
	v_add_f64 v[10:11], v[182:183], v[62:63]
	v_add_f64 v[62:63], v[62:63], v[108:109]
	v_add_f64 v[54:55], v[54:55], -v[104:105]
	v_fma_f64 v[62:63], -0.5, v[62:63], v[182:183]
	v_fmac_f64_e32 v[74:75], s[2:3], v[72:73]
	v_add_f64 v[10:11], v[10:11], v[108:109]
	v_fma_f64 v[72:73], s[6:7], v[54:55], v[62:63]
	v_fmac_f64_e32 v[62:63], s[2:3], v[54:55]
	v_add_f64 v[54:55], v[70:71], v[58:59]
	ds_write_b64 v157, v[74:75] offset:432
	ds_write2_b64 v158, v[10:11], v[72:73] offset1:27
	v_add_f64 v[10:11], v[184:185], v[70:71]
	v_fmac_f64_e32 v[184:185], -0.5, v[54:55]
	v_add_f64 v[52:53], v[60:61], -v[52:53]
	v_add_f64 v[10:11], v[10:11], v[58:59]
	v_fma_f64 v[54:55], s[6:7], v[52:53], v[184:185]
	v_fmac_f64_e32 v[184:185], s[2:3], v[52:53]
	v_add_f64 v[52:53], v[64:65], v[86:87]
	ds_write_b64 v158, v[62:63] offset:432
	ds_write2_b64 v159, v[10:11], v[54:55] offset1:27
	v_add_f64 v[10:11], v[186:187], v[64:65]
	v_fmac_f64_e32 v[186:187], -0.5, v[52:53]
	v_add_f64 v[52:53], v[56:57], -v[68:69]
	v_add_f64 v[56:57], v[116:117], v[84:85]
	v_fma_f64 v[54:55], s[6:7], v[52:53], v[186:187]
	v_fmac_f64_e32 v[186:187], s[2:3], v[52:53]
	v_add_f64 v[52:53], v[136:137], v[116:117]
	v_fmac_f64_e32 v[136:137], -0.5, v[56:57]
	v_add_f64 v[56:57], v[110:111], -v[66:67]
	v_add_f64 v[60:61], v[120:121], v[132:133]
	v_fma_f64 v[58:59], s[6:7], v[56:57], v[136:137]
	v_fmac_f64_e32 v[136:137], s[2:3], v[56:57]
	;; [unrolled: 6-line block ×3, first 2 shown]
	v_add_f64 v[60:61], v[50:51], v[138:139]
	v_fmac_f64_e32 v[50:51], -0.5, v[64:65]
	v_add_f64 v[64:65], v[128:129], -v[118:119]
	v_add_f64 v[68:69], v[130:131], v[96:97]
	v_add_f64 v[52:53], v[52:53], v[84:85]
	v_fma_f64 v[66:67], s[6:7], v[64:65], v[50:51]
	v_fmac_f64_e32 v[50:51], s[2:3], v[64:65]
	v_add_f64 v[64:65], v[48:49], v[130:131]
	v_fmac_f64_e32 v[48:49], -0.5, v[68:69]
	v_add_f64 v[68:69], v[122:123], -v[188:189]
	v_add_f64 v[10:11], v[10:11], v[86:87]
	v_add_f64 v[56:57], v[56:57], v[132:133]
	;; [unrolled: 1-line block ×4, first 2 shown]
	v_fma_f64 v[70:71], s[6:7], v[68:69], v[48:49]
	v_fmac_f64_e32 v[48:49], s[2:3], v[68:69]
	ds_write_b64 v159, v[184:185] offset:432
	ds_write2_b64 v173, v[10:11], v[54:55] offset1:27
	ds_write_b64 v173, v[186:187] offset:432
	ds_write2_b64 v94, v[52:53], v[58:59] offset1:27
	;; [unrolled: 2-line block ×5, first 2 shown]
	ds_write_b64 v95, v[48:49] offset:432
	v_lshlrev_b32_e32 v52, 1, v160
	v_mov_b32_e32 v53, 0
	v_lshl_add_u64 v[10:11], v[52:53], 4, s[4:5]
	v_subrev_u32_e32 v52, 18, v160
	v_cmp_gt_u32_e64 s[0:1], 18, v160
	s_waitcnt lgkmcnt(0)
	; wave barrier
	s_waitcnt lgkmcnt(0)
	v_cndmask_b32_e64 v96, v52, v153, s[0:1]
	v_lshlrev_b32_e32 v52, 1, v96
	v_lshl_add_u64 v[60:61], v[52:53], 4, s[4:5]
	s_movk_i32 s0, 0xcb
	global_load_dwordx4 v[48:51], v[10:11], off offset:1264
	global_load_dwordx4 v[52:55], v[60:61], off offset:1264
	;; [unrolled: 1-line block ×3, first 2 shown]
	v_mul_lo_u16_sdwa v60, v162, s0 dst_sel:DWORD dst_unused:UNUSED_PAD src0_sel:BYTE_0 src1_sel:DWORD
	v_lshrrev_b16_e32 v97, 14, v60
	v_mul_lo_u16_e32 v60, 0x51, v97
	v_sub_u16_e32 v98, v162, v60
	v_lshlrev_b32_sdwa v68, v152, v98 dst_sel:DWORD dst_unused:UNUSED_PAD src0_sel:DWORD src1_sel:BYTE_0
	global_load_dwordx4 v[64:67], v68, s[4:5] offset:1248
	global_load_dwordx4 v[60:63], v68, s[4:5] offset:1264
	v_mul_lo_u16_sdwa v68, v161, s0 dst_sel:DWORD dst_unused:UNUSED_PAD src0_sel:BYTE_0 src1_sel:DWORD
	v_lshrrev_b16_e32 v99, 14, v68
	v_mul_lo_u16_e32 v68, 0x51, v99
	v_sub_u16_e32 v202, v161, v68
	v_lshlrev_b32_sdwa v84, v152, v202 dst_sel:DWORD dst_unused:UNUSED_PAD src0_sel:DWORD src1_sel:BYTE_0
	s_movk_i32 s0, 0x6523
	global_load_dwordx4 v[72:75], v84, s[4:5] offset:1264
	global_load_dwordx4 v[68:71], v84, s[4:5] offset:1248
	v_mul_u32_u24_sdwa v84, v149, s0 dst_sel:DWORD dst_unused:UNUSED_PAD src0_sel:WORD_0 src1_sel:DWORD
	v_lshrrev_b32_e32 v84, 21, v84
	v_mul_lo_u16_e32 v84, 0x51, v84
	v_sub_u16_e32 v203, v149, v84
	v_lshlrev_b32_e32 v84, 5, v203
	global_load_dwordx4 v[100:103], v84, s[4:5] offset:1248
	global_load_dwordx4 v[124:127], v84, s[4:5] offset:1264
	v_mul_u32_u24_sdwa v84, v148, s0 dst_sel:DWORD dst_unused:UNUSED_PAD src0_sel:WORD_0 src1_sel:DWORD
	v_lshrrev_b32_e32 v204, 21, v84
	v_mul_lo_u16_e32 v84, 0x51, v204
	v_sub_u16_e32 v205, v148, v84
	v_lshlrev_b32_e32 v84, 5, v205
	;; [unrolled: 7-line block ×5, first 2 shown]
	global_load_dwordx4 v[190:193], v88, s[4:5] offset:1248
	ds_read2_b64 v[84:87], v165 offset0:110 offset1:173
	global_load_dwordx4 v[194:197], v88, s[4:5] offset:1264
	global_load_dwordx4 v[198:201], v[10:11], off offset:1248
	v_cmp_lt_u32_e64 s[0:1], 17, v160
	s_waitcnt vmcnt(17) lgkmcnt(0)
	v_mul_f64 v[10:11], v[84:85], v[50:51]
	v_mul_f64 v[110:111], v[44:45], v[50:51]
	v_fma_f64 v[88:89], v[44:45], v[48:49], -v[10:11]
	v_fmac_f64_e32 v[110:111], v[84:85], v[48:49]
	ds_read2_b64 v[48:51], v168 offset0:118 offset1:181
	s_waitcnt vmcnt(16)
	v_mul_f64 v[10:11], v[86:87], v[54:55]
	v_fma_f64 v[84:85], v[46:47], v[52:53], -v[10:11]
	v_mul_f64 v[92:93], v[46:47], v[54:55]
	ds_read2_b64 v[44:47], v164 offset0:108 offset1:171
	s_waitcnt vmcnt(15) lgkmcnt(1)
	v_mul_f64 v[10:11], v[48:49], v[58:59]
	v_fma_f64 v[90:91], v[40:41], v[56:57], -v[10:11]
	s_waitcnt vmcnt(14)
	v_mul_f64 v[10:11], v[50:51], v[66:67]
	v_fmac_f64_e32 v[92:93], v[86:87], v[52:53]
	v_mul_f64 v[112:113], v[40:41], v[58:59]
	v_fma_f64 v[86:87], v[42:43], v[64:65], -v[10:11]
	v_mul_f64 v[94:95], v[42:43], v[66:67]
	ds_read2_b64 v[40:43], v144 offset0:116 offset1:179
	s_waitcnt vmcnt(13) lgkmcnt(1)
	v_mul_f64 v[10:11], v[44:45], v[62:63]
	v_fma_f64 v[104:105], v[36:37], v[60:61], -v[10:11]
	s_waitcnt vmcnt(12)
	v_mul_f64 v[10:11], v[46:47], v[74:75]
	v_fma_f64 v[106:107], v[38:39], v[72:73], -v[10:11]
	s_waitcnt vmcnt(11) lgkmcnt(0)
	v_mul_f64 v[10:11], v[40:41], v[70:71]
	v_mul_f64 v[114:115], v[36:37], v[62:63]
	;; [unrolled: 1-line block ×3, first 2 shown]
	v_fma_f64 v[118:119], v[32:33], v[68:69], -v[10:11]
	s_waitcnt vmcnt(10)
	v_mul_f64 v[10:11], v[42:43], v[102:103]
	ds_read2_b64 v[36:39], v169 offset0:106 offset1:169
	v_mul_f64 v[140:141], v[32:33], v[70:71]
	v_fma_f64 v[70:71], v[34:35], v[100:101], -v[10:11]
	v_mul_f64 v[122:123], v[34:35], v[102:103]
	ds_read2_b64 v[32:35], v167 offset0:114 offset1:177
	s_waitcnt vmcnt(9) lgkmcnt(1)
	v_mul_f64 v[10:11], v[36:37], v[126:127]
	v_fma_f64 v[138:139], v[28:29], v[124:125], -v[10:11]
	v_fmac_f64_e32 v[120:121], v[46:47], v[72:73]
	v_mul_f64 v[152:153], v[28:29], v[126:127]
	s_waitcnt vmcnt(8) lgkmcnt(0)
	v_mul_f64 v[10:11], v[32:33], v[130:131]
	v_fma_f64 v[72:73], v[24:25], v[128:129], -v[10:11]
	v_mul_f64 v[126:127], v[24:25], v[130:131]
	s_waitcnt vmcnt(7)
	v_mul_f64 v[10:11], v[38:39], v[158:159]
	v_fmac_f64_e32 v[126:127], v[32:33], v[128:129]
	v_fma_f64 v[128:129], v[30:31], v[156:157], -v[10:11]
	v_mul_f64 v[144:145], v[30:31], v[158:159]
	ds_read2_b64 v[28:31], v146 offset0:104 offset1:167
	s_waitcnt vmcnt(6)
	v_mul_f64 v[10:11], v[34:35], v[176:177]
	v_fma_f64 v[74:75], v[26:27], v[174:175], -v[10:11]
	v_mul_f64 v[130:131], v[26:27], v[176:177]
	ds_read2_b64 v[24:27], v170 offset0:112 offset1:175
	s_waitcnt vmcnt(5) lgkmcnt(1)
	v_mul_f64 v[10:11], v[28:29], v[180:181]
	v_fma_f64 v[132:133], v[20:21], v[178:179], -v[10:11]
	s_waitcnt vmcnt(4)
	v_mul_f64 v[10:11], v[30:31], v[184:185]
	v_fma_f64 v[108:109], v[22:23], v[182:183], -v[10:11]
	s_waitcnt vmcnt(3) lgkmcnt(0)
	v_mul_f64 v[10:11], v[24:25], v[188:189]
	v_mul_f64 v[136:137], v[22:23], v[184:185]
	v_fma_f64 v[22:23], v[6:7], v[186:187], -v[10:11]
	v_mul_f64 v[148:149], v[6:7], v[188:189]
	s_waitcnt vmcnt(2)
	v_mul_f64 v[6:7], v[26:27], v[192:193]
	v_fmac_f64_e32 v[140:141], v[40:41], v[68:69]
	v_fma_f64 v[68:69], v[8:9], v[190:191], -v[6:7]
	ds_read_b64 v[6:7], v163 offset:13104
	v_fmac_f64_e32 v[94:95], v[50:51], v[64:65]
	v_mul_f64 v[116:117], v[8:9], v[192:193]
	ds_read_b64 v[64:65], v154
	ds_read2_b64 v[8:11], v166 offset0:120 offset1:183
	ds_read_b64 v[66:67], v151
	ds_read_b64 v[150:151], v150
	v_mul_f64 v[146:147], v[20:21], v[180:181]
	s_waitcnt vmcnt(1) lgkmcnt(4)
	v_mul_f64 v[20:21], v[6:7], v[196:197]
	v_fma_f64 v[154:155], v[82:83], v[194:195], -v[20:21]
	v_mul_f64 v[82:83], v[82:83], v[196:197]
	v_fmac_f64_e32 v[82:83], v[6:7], v[194:195]
	s_waitcnt vmcnt(0) lgkmcnt(2)
	v_mul_f64 v[6:7], v[10:11], v[200:201]
	v_fmac_f64_e32 v[144:145], v[38:39], v[156:157]
	v_fma_f64 v[156:157], v[2:3], v[198:199], -v[6:7]
	v_mul_f64 v[158:159], v[2:3], v[200:201]
	v_fmac_f64_e32 v[158:159], v[10:11], v[198:199]
	v_add_f64 v[6:7], v[156:157], v[88:89]
	v_add_f64 v[2:3], v[16:17], v[156:157]
	v_fma_f64 v[6:7], -0.5, v[6:7], v[16:17]
	v_add_f64 v[16:17], v[158:159], -v[110:111]
	v_fma_f64 v[20:21], s[2:3], v[16:17], v[6:7]
	v_fmac_f64_e32 v[6:7], s[6:7], v[16:17]
	v_fmac_f64_e32 v[114:115], v[44:45], v[60:61]
	v_fmac_f64_e32 v[148:149], v[24:25], v[186:187]
	v_fmac_f64_e32 v[116:117], v[26:27], v[190:191]
	ds_read_b64 v[10:11], v171
	ds_read2_b64 v[60:63], v163 offset1:63
	ds_read2_b64 v[24:27], v163 offset0:126 offset1:189
	s_waitcnt lgkmcnt(0)
	; wave barrier
	s_waitcnt lgkmcnt(0)
	ds_write_b64 v163, v[6:7] offset:1296
	v_mov_b32_e32 v6, 0x798
	v_fmac_f64_e32 v[112:113], v[48:49], v[56:57]
	v_add_f64 v[2:3], v[2:3], v[88:89]
	v_add_f64 v[16:17], v[90:91], v[84:85]
	v_cndmask_b32_e64 v6, 0, v6, s[0:1]
	v_lshlrev_b32_e32 v7, 3, v96
	ds_write2_b64 v163, v[2:3], v[20:21] offset1:81
	v_add_f64 v[2:3], v[18:19], v[90:91]
	v_fmac_f64_e32 v[18:19], -0.5, v[16:17]
	v_add3_u32 v171, 0, v6, v7
	v_add_f64 v[6:7], v[112:113], -v[92:93]
	v_add_f64 v[2:3], v[2:3], v[84:85]
	v_fma_f64 v[16:17], s[2:3], v[6:7], v[18:19]
	ds_write2_b64 v171, v[2:3], v[16:17] offset1:81
	v_fmac_f64_e32 v[18:19], s[6:7], v[6:7]
	v_mul_u32_u24_e32 v2, 0x798, v97
	v_lshlrev_b32_sdwa v3, v172, v98 dst_sel:DWORD dst_unused:UNUSED_PAD src0_sel:DWORD src1_sel:BYTE_0
	v_add_f64 v[6:7], v[86:87], v[104:105]
	v_add3_u32 v173, 0, v2, v3
	v_add_f64 v[2:3], v[12:13], v[86:87]
	v_fma_f64 v[6:7], -0.5, v[6:7], v[12:13]
	v_add_f64 v[12:13], v[94:95], -v[114:115]
	v_fma_f64 v[16:17], s[2:3], v[12:13], v[6:7]
	v_fmac_f64_e32 v[6:7], s[6:7], v[12:13]
	ds_write_b64 v171, v[18:19] offset:1296
	v_add_f64 v[2:3], v[2:3], v[104:105]
	v_add_f64 v[12:13], v[118:119], v[106:107]
	ds_write_b64 v173, v[6:7] offset:1296
	v_lshlrev_b32_sdwa v6, v172, v202 dst_sel:DWORD dst_unused:UNUSED_PAD src0_sel:DWORD src1_sel:BYTE_0
	v_mul_u32_u24_e32 v7, 0x798, v99
	ds_write2_b64 v173, v[2:3], v[16:17] offset1:81
	v_add_f64 v[2:3], v[14:15], v[118:119]
	v_fmac_f64_e32 v[14:15], -0.5, v[12:13]
	v_add3_u32 v172, 0, v7, v6
	v_add_f64 v[6:7], v[140:141], -v[120:121]
	v_fmac_f64_e32 v[122:123], v[42:43], v[100:101]
	v_fmac_f64_e32 v[152:153], v[36:37], v[124:125]
	v_add_f64 v[2:3], v[2:3], v[106:107]
	v_fma_f64 v[12:13], s[2:3], v[6:7], v[14:15]
	v_fmac_f64_e32 v[14:15], s[6:7], v[6:7]
	v_add_f64 v[6:7], v[70:71], v[138:139]
	v_fmac_f64_e32 v[130:131], v[34:35], v[174:175]
	ds_write2_b64 v172, v[2:3], v[12:13] offset1:81
	v_add_f64 v[2:3], v[80:81], v[70:71]
	v_fmac_f64_e32 v[80:81], -0.5, v[6:7]
	v_lshl_add_u32 v174, v203, 3, 0
	v_add_f64 v[6:7], v[122:123], -v[152:153]
	v_add_f64 v[2:3], v[2:3], v[138:139]
	v_add_u32_e32 v175, 0x1400, v174
	v_fma_f64 v[12:13], s[2:3], v[6:7], v[80:81]
	v_fmac_f64_e32 v[80:81], s[6:7], v[6:7]
	v_add_f64 v[6:7], v[72:73], v[128:129]
	ds_write_b64 v172, v[14:15] offset:1296
	ds_write2_b64 v175, v[2:3], v[12:13] offset0:89 offset1:170
	v_add_f64 v[2:3], v[78:79], v[72:73]
	v_fmac_f64_e32 v[78:79], -0.5, v[6:7]
	v_mul_u32_u24_e32 v6, 0x798, v204
	v_lshlrev_b32_e32 v7, 3, v205
	ds_write_b64 v174, v[80:81] offset:7128
	v_add3_u32 v80, 0, v6, v7
	v_add_f64 v[6:7], v[126:127], -v[144:145]
	v_add_f64 v[2:3], v[2:3], v[128:129]
	v_fma_f64 v[12:13], s[2:3], v[6:7], v[78:79]
	v_fmac_f64_e32 v[78:79], s[6:7], v[6:7]
	v_add_f64 v[6:7], v[74:75], v[132:133]
	ds_write2_b64 v80, v[2:3], v[12:13] offset1:81
	v_add_f64 v[2:3], v[76:77], v[74:75]
	v_fmac_f64_e32 v[76:77], -0.5, v[6:7]
	v_perm_b32 v6, v208, v206, s12
	s_movk_i32 s0, 0x798
	v_pk_mul_lo_u16 v20, v6, s0 op_sel_hi:[1,0]
	v_fmac_f64_e32 v[146:147], v[28:29], v[178:179]
	v_lshlrev_b32_e32 v6, 3, v207
	v_and_b32_e32 v7, 0xfff8, v20
	ds_write_b64 v80, v[78:79] offset:1296
	v_add3_u32 v78, 0, v7, v6
	v_add_f64 v[6:7], v[130:131], -v[146:147]
	v_add_f64 v[2:3], v[2:3], v[132:133]
	v_fma_f64 v[12:13], s[2:3], v[6:7], v[76:77]
	v_fmac_f64_e32 v[136:137], v[30:31], v[182:183]
	ds_write2_b64 v78, v[2:3], v[12:13] offset1:81
	v_fmac_f64_e32 v[76:77], s[6:7], v[6:7]
	v_add_f64 v[2:3], v[4:5], v[22:23]
	v_add_f64 v[6:7], v[22:23], v[108:109]
	v_fmac_f64_e32 v[4:5], -0.5, v[6:7]
	v_add_f64 v[14:15], v[2:3], v[108:109]
	v_add_f64 v[2:3], v[148:149], -v[136:137]
	v_fma_f64 v[16:17], s[2:3], v[2:3], v[4:5]
	v_fmac_f64_e32 v[4:5], s[6:7], v[2:3]
	v_add_f64 v[2:3], v[0:1], v[68:69]
	v_add_f64 v[6:7], v[2:3], v[154:155]
	;; [unrolled: 1-line block ×3, first 2 shown]
	v_fmac_f64_e32 v[0:1], -0.5, v[2:3]
	v_add_f64 v[2:3], v[116:117], -v[82:83]
	v_fma_f64 v[18:19], s[2:3], v[2:3], v[0:1]
	v_fmac_f64_e32 v[0:1], s[6:7], v[2:3]
	ds_write_b64 v78, v[76:77] offset:1296
	v_lshrrev_b32_e32 v2, 16, v20
	v_lshlrev_b32_e32 v3, 3, v209
	v_lshl_add_u32 v77, v210, 3, 0
	v_add3_u32 v76, 0, v2, v3
	v_add_u32_e32 v79, 0x2c00, v77
	ds_write2_b64 v76, v[14:15], v[16:17] offset1:81
	ds_write_b64 v76, v[4:5] offset:1296
	ds_write2_b64 v79, v[6:7], v[18:19] offset0:50 offset1:131
	ds_write_b64 v77, v[0:1] offset:12960
	s_waitcnt lgkmcnt(0)
	; wave barrier
	s_waitcnt lgkmcnt(0)
	v_add_u32_e32 v176, 0x800, v163
	ds_read_b64 v[124:125], v163 offset:12672
	ds_read2_b64 v[28:31], v163 offset1:63
	ds_read2_b64 v[44:47], v163 offset0:126 offset1:243
	ds_read2_b64 v[40:43], v166 offset0:102 offset1:165
	;; [unrolled: 1-line block ×9, first 2 shown]
	v_cmp_gt_u32_e64 s[0:1], 54, v160
                                        ; implicit-def: $vgpr2_vgpr3
	s_and_saveexec_b64 s[12:13], s[0:1]
	s_cbranch_execz .LBB0_15
; %bb.14:
	v_add_u32_e32 v0, 0x5c0, v163
	ds_read2_b64 v[14:17], v0 offset0:5 offset1:248
	v_add_u32_e32 v0, 0x1500, v163
	ds_read2_b64 v[4:7], v0 offset0:3 offset1:246
	ds_read2_b64 v[18:21], v164 offset0:9 offset1:252
	ds_read_b64 v[2:3], v163 offset:13176
	s_waitcnt lgkmcnt(1)
	v_mov_b64_e32 v[0:1], v[20:21]
.LBB0_15:
	s_or_b64 exec, exec, s[12:13]
	v_add_f64 v[12:13], v[60:61], v[158:159]
	v_add_f64 v[178:179], v[12:13], v[110:111]
	;; [unrolled: 1-line block ×3, first 2 shown]
	v_fma_f64 v[60:61], -0.5, v[12:13], v[60:61]
	v_add_f64 v[12:13], v[156:157], -v[88:89]
	v_fma_f64 v[88:89], s[6:7], v[12:13], v[60:61]
	v_fmac_f64_e32 v[60:61], s[2:3], v[12:13]
	v_add_f64 v[12:13], v[62:63], v[112:113]
	v_add_f64 v[110:111], v[12:13], v[92:93]
	;; [unrolled: 1-line block ×3, first 2 shown]
	v_fmac_f64_e32 v[62:63], -0.5, v[12:13]
	v_add_f64 v[12:13], v[90:91], -v[84:85]
	v_fma_f64 v[84:85], s[6:7], v[12:13], v[62:63]
	v_fmac_f64_e32 v[62:63], s[2:3], v[12:13]
	v_add_f64 v[12:13], v[24:25], v[94:95]
	v_add_f64 v[90:91], v[12:13], v[114:115]
	;; [unrolled: 1-line block ×3, first 2 shown]
	v_fma_f64 v[92:93], -0.5, v[12:13], v[24:25]
	v_add_f64 v[12:13], v[86:87], -v[104:105]
	v_fma_f64 v[86:87], s[6:7], v[12:13], v[92:93]
	v_fmac_f64_e32 v[92:93], s[2:3], v[12:13]
	v_add_f64 v[12:13], v[26:27], v[140:141]
	v_add_f64 v[94:95], v[12:13], v[120:121]
	v_add_f64 v[12:13], v[140:141], v[120:121]
	v_fmac_f64_e32 v[26:27], -0.5, v[12:13]
	v_add_f64 v[12:13], v[118:119], -v[106:107]
	v_fma_f64 v[104:105], s[6:7], v[12:13], v[26:27]
	v_fmac_f64_e32 v[26:27], s[2:3], v[12:13]
	v_add_f64 v[12:13], v[150:151], v[122:123]
	v_add_f64 v[106:107], v[12:13], v[152:153]
	v_add_f64 v[12:13], v[122:123], v[152:153]
	v_fmac_f64_e32 v[150:151], -0.5, v[12:13]
	;; [unrolled: 7-line block ×5, first 2 shown]
	v_add_f64 v[12:13], v[22:23], -v[108:109]
	v_add_f64 v[24:25], v[116:117], v[82:83]
	v_fma_f64 v[22:23], s[6:7], v[12:13], v[10:11]
	v_fmac_f64_e32 v[10:11], s[2:3], v[12:13]
	v_add_f64 v[12:13], v[8:9], v[116:117]
	v_fmac_f64_e32 v[8:9], -0.5, v[24:25]
	v_add_f64 v[68:69], v[68:69], -v[154:155]
	v_add_f64 v[12:13], v[12:13], v[82:83]
	v_fma_f64 v[24:25], s[6:7], v[68:69], v[8:9]
	v_fmac_f64_e32 v[8:9], s[2:3], v[68:69]
	s_waitcnt lgkmcnt(0)
	; wave barrier
	s_waitcnt lgkmcnt(0)
	ds_write2_b64 v163, v[178:179], v[88:89] offset1:81
	ds_write_b64 v163, v[60:61] offset:1296
	ds_write2_b64 v171, v[110:111], v[84:85] offset1:81
	ds_write_b64 v171, v[62:63] offset:1296
	;; [unrolled: 2-line block ×4, first 2 shown]
	ds_write2_b64 v175, v[106:107], v[70:71] offset0:89 offset1:170
	ds_write_b64 v174, v[150:151] offset:7128
	ds_write2_b64 v80, v[112:113], v[72:73] offset1:81
	ds_write_b64 v80, v[66:67] offset:1296
	ds_write2_b64 v78, v[114:115], v[74:75] offset1:81
	;; [unrolled: 2-line block ×3, first 2 shown]
	ds_write_b64 v76, v[10:11] offset:1296
	ds_write2_b64 v79, v[12:13], v[24:25] offset0:50 offset1:131
	ds_write_b64 v77, v[8:9] offset:12960
	s_waitcnt lgkmcnt(0)
	; wave barrier
	s_waitcnt lgkmcnt(0)
	ds_read2_b64 v[60:63], v163 offset1:63
	ds_read2_b64 v[76:79], v163 offset0:126 offset1:243
	ds_read2_b64 v[72:75], v166 offset0:102 offset1:165
	;; [unrolled: 1-line block ×9, first 2 shown]
	ds_read_b64 v[148:149], v163 offset:12672
                                        ; implicit-def: $vgpr144_vgpr145
	s_and_saveexec_b64 s[2:3], s[0:1]
	s_cbranch_execz .LBB0_17
; %bb.16:
	v_add_u32_e32 v8, 0x5c0, v163
	ds_read2_b64 v[20:23], v8 offset0:5 offset1:248
	v_add_u32_e32 v8, 0x1500, v163
	ds_read2_b64 v[10:13], v8 offset0:3 offset1:246
	;; [unrolled: 2-line block ×3, first 2 shown]
	ds_read_b64 v[144:145], v163 offset:13176
	s_waitcnt lgkmcnt(1)
	v_mov_b64_e32 v[8:9], v[26:27]
.LBB0_17:
	s_or_b64 exec, exec, s[2:3]
	s_and_saveexec_b64 s[2:3], vcc
	s_cbranch_execz .LBB0_20
; %bb.18:
	v_mul_u32_u24_e32 v26, 6, v162
	v_lshlrev_b32_e32 v26, 4, v26
	global_load_dwordx4 v[88:91], v26, s[4:5] offset:3840
	global_load_dwordx4 v[116:119], v26, s[4:5] offset:3920
	;; [unrolled: 1-line block ×6, first 2 shown]
	v_mul_lo_u32 v26, s9, v134
	v_mul_lo_u32 v135, s8, v135
	v_mad_u64_u32 v[146:147], s[2:3], s8, v134, 0
	v_mov_b32_e32 v134, 0xfffffe86
	v_mov_b32_e32 v27, 0
	v_add3_u32 v147, v147, v135, v26
	v_mad_u32_u24 v26, v162, 6, v134
	v_lshl_add_u64 v[158:159], v[26:27], 4, s[4:5]
	global_load_dwordx4 v[134:137], v[158:159], off offset:3888
	global_load_dwordx4 v[138:141], v[158:159], off offset:3872
	;; [unrolled: 1-line block ×6, first 2 shown]
	s_mov_b32 s8, 0xe976ee23
	s_mov_b32 s14, 0x36b3c0b5
	;; [unrolled: 1-line block ×20, first 2 shown]
	v_mul_u32_u24_e32 v26, 6, v160
	v_lshlrev_b32_e32 v26, 4, v26
	s_mov_b32 s27, 0x86d90545
	s_movk_i32 s26, 0xf3
	s_movk_i32 s28, 0x6a5
	s_waitcnt vmcnt(11)
	v_mul_f64 v[180:181], v[102:103], v[90:91]
	s_waitcnt vmcnt(10) lgkmcnt(0)
	v_mul_f64 v[170:171], v[148:149], v[118:119]
	v_mul_f64 v[118:119], v[124:125], v[118:119]
	;; [unrolled: 1-line block ×3, first 2 shown]
	s_waitcnt vmcnt(7)
	v_mul_f64 v[176:177], v[68:69], v[114:115]
	s_waitcnt vmcnt(6)
	v_mul_f64 v[178:179], v[128:129], v[122:123]
	v_mul_f64 v[122:123], v[98:99], v[122:123]
	;; [unrolled: 1-line block ×7, first 2 shown]
	v_fmac_f64_e32 v[118:119], v[148:149], v[116:117]
	v_fmac_f64_e32 v[180:181], v[132:133], v[88:89]
	;; [unrolled: 1-line block ×4, first 2 shown]
	v_fma_f64 v[90:91], v[102:103], v[88:89], -v[158:159]
	v_fma_f64 v[102:103], v[124:125], v[116:117], -v[170:171]
	;; [unrolled: 1-line block ×6, first 2 shown]
	v_fmac_f64_e32 v[110:111], v[94:95], v[108:109]
	v_fmac_f64_e32 v[182:183], v[80:81], v[104:105]
	v_add_f64 v[104:105], v[180:181], v[118:119]
	v_add_f64 v[112:113], v[114:115], v[122:123]
	v_add_f64 v[68:69], v[90:91], -v[102:103]
	v_add_f64 v[80:81], v[48:49], -v[58:59]
	;; [unrolled: 1-line block ×3, first 2 shown]
	v_add_f64 v[88:89], v[182:183], v[110:111]
	v_add_f64 v[102:103], v[90:91], v[102:103]
	v_add_f64 v[36:37], v[36:37], v[98:99]
	v_add_f64 v[98:99], v[104:105], v[112:113]
	v_add_f64 v[48:49], v[48:49], v[58:59]
	v_add_f64 v[90:91], v[80:81], -v[94:95]
	v_add_f64 v[106:107], v[104:105], -v[88:89]
	;; [unrolled: 1-line block ×3, first 2 shown]
	v_add_f64 v[116:117], v[102:103], v[36:37]
	v_add_f64 v[88:89], v[88:89], v[98:99]
	v_mul_f64 v[120:121], v[90:91], s[8:9]
	v_mul_f64 v[124:125], v[108:109], s[14:15]
	v_add_f64 v[90:91], v[48:49], v[116:117]
	v_add_f64 v[108:109], v[76:77], v[88:89]
	v_mul_f64 v[98:99], v[106:107], s[16:17]
	v_fma_f64 v[76:77], s[16:17], v[106:107], v[124:125]
	v_add_f64 v[106:107], v[44:45], v[90:91]
	v_mov_b64_e32 v[44:45], v[108:109]
	v_fmac_f64_e32 v[44:45], s[12:13], v[88:89]
	v_add_f64 v[88:89], v[102:103], -v[48:49]
	v_add_f64 v[48:49], v[48:49], -v[36:37]
	v_mov_b64_e32 v[116:117], v[106:107]
	v_mul_f64 v[48:49], v[48:49], s[14:15]
	v_fmac_f64_e32 v[116:117], s[12:13], v[90:91]
	v_mul_f64 v[132:133], v[88:89], s[16:17]
	v_fma_f64 v[88:89], s[16:17], v[88:89], v[48:49]
	v_add_f64 v[58:59], v[68:69], -v[80:81]
	v_add_f64 v[80:81], v[80:81], v[94:95]
	v_add_f64 v[148:149], v[88:89], v[116:117]
	v_add_f64 v[88:89], v[182:183], -v[110:111]
	v_add_f64 v[114:115], v[114:115], -v[122:123]
	v_add_f64 v[80:81], v[68:69], v[80:81]
	v_add_f64 v[118:119], v[180:181], -v[118:119]
	v_add_f64 v[122:123], v[88:89], -v[114:115]
	;; [unrolled: 1-line block ×4, first 2 shown]
	v_mul_f64 v[122:123], v[122:123], s[8:9]
	v_add_f64 v[88:89], v[88:89], v[114:115]
	v_mul_f64 v[94:95], v[68:69], s[20:21]
	v_add_f64 v[36:37], v[36:37], -v[102:103]
	v_add_f64 v[114:115], v[114:115], -v[118:119]
	v_fma_f64 v[128:129], s[6:7], v[58:59], v[120:121]
	v_add_f64 v[170:171], v[118:119], v[88:89]
	v_fma_f64 v[58:59], v[58:59], s[18:19], -v[94:95]
	v_add_f64 v[94:95], v[112:113], -v[104:105]
	v_fma_f64 v[102:103], v[36:37], s[22:23], -v[132:133]
	v_fma_f64 v[36:37], v[36:37], s[24:25], -v[48:49]
	;; [unrolled: 1-line block ×4, first 2 shown]
	v_add_f64 v[132:133], v[102:103], v[116:117]
	v_mul_f64 v[102:103], v[114:115], s[20:21]
	v_fma_f64 v[94:95], v[94:95], s[24:25], -v[124:125]
	v_fma_f64 v[68:69], v[68:69], s[20:21], -v[120:121]
	v_add_f64 v[36:37], v[36:37], v[116:117]
	v_fmac_f64_e32 v[48:49], s[2:3], v[170:171]
	v_add_f64 v[76:77], v[76:77], v[44:45]
	v_fma_f64 v[158:159], s[6:7], v[110:111], v[122:123]
	v_add_f64 v[98:99], v[98:99], v[44:45]
	v_fma_f64 v[118:119], v[110:111], s[18:19], -v[102:103]
	v_add_f64 v[44:45], v[94:95], v[44:45]
	v_fmac_f64_e32 v[68:69], s[2:3], v[80:81]
	v_add_f64 v[110:111], v[48:49], v[36:37]
	v_add_f64 v[114:115], v[36:37], -v[48:49]
	s_waitcnt vmcnt(2)
	v_mul_f64 v[36:37], v[130:131], v[156:157]
	v_fmac_f64_e32 v[58:59], s[2:3], v[80:81]
	v_add_f64 v[112:113], v[44:45], -v[68:69]
	v_add_f64 v[116:117], v[68:69], v[44:45]
	v_fma_f64 v[48:49], v[100:101], v[154:155], -v[36:37]
	s_waitcnt vmcnt(1)
	v_mul_f64 v[36:37], v[86:87], v[164:165]
	v_mul_f64 v[44:45], v[74:75], v[152:153]
	v_fmac_f64_e32 v[128:129], s[2:3], v[80:81]
	v_fmac_f64_e32 v[158:159], s[2:3], v[170:171]
	v_add_f64 v[104:105], v[58:59], v[98:99]
	v_add_f64 v[120:121], v[98:99], -v[58:59]
	v_fma_f64 v[58:59], v[54:55], v[162:163], -v[36:37]
	v_mul_f64 v[36:37], v[66:67], v[136:137]
	v_fma_f64 v[98:99], v[42:43], v[150:151], -v[44:45]
	s_waitcnt vmcnt(0)
	v_mul_f64 v[44:45], v[126:127], v[168:169]
	v_mul_f64 v[54:55], v[54:55], v[164:165]
	v_add_f64 v[90:91], v[128:129], v[76:77]
	v_add_f64 v[88:89], v[148:149], -v[158:159]
	v_fmac_f64_e32 v[118:119], s[2:3], v[170:171]
	v_add_f64 v[124:125], v[76:77], -v[128:129]
	v_add_f64 v[122:123], v[158:159], v[148:149]
	v_fma_f64 v[76:77], v[34:35], v[134:135], -v[36:37]
	v_mul_f64 v[36:37], v[92:93], v[140:141]
	v_fma_f64 v[158:159], v[96:97], v[166:167], -v[44:45]
	v_fmac_f64_e32 v[54:55], v[86:87], v[162:163]
	v_mul_f64 v[86:87], v[100:101], v[156:157]
	v_mul_f64 v[96:97], v[96:97], v[168:169]
	;; [unrolled: 1-line block ×4, first 2 shown]
	v_add_f64 v[102:103], v[132:133], -v[118:119]
	v_add_f64 v[118:119], v[118:119], v[132:133]
	v_fma_f64 v[80:81], v[56:57], v[138:139], -v[36:37]
	v_fmac_f64_e32 v[86:87], v[130:131], v[154:155]
	v_fmac_f64_e32 v[96:97], v[126:127], v[166:167]
	v_fmac_f64_e32 v[156:157], v[74:75], v[150:151]
	global_load_dwordx4 v[126:129], v26, s[4:5] offset:3856
	global_load_dwordx4 v[130:133], v26, s[4:5] offset:3840
	;; [unrolled: 1-line block ×3, first 2 shown]
	v_mul_f64 v[56:57], v[56:57], v[140:141]
	v_fmac_f64_e32 v[34:35], v[66:67], v[134:135]
	global_load_dwordx4 v[134:137], v26, s[4:5] offset:3904
	global_load_dwordx4 v[152:155], v26, s[4:5] offset:3888
	v_fmac_f64_e32 v[56:57], v[92:93], v[138:139]
	global_load_dwordx4 v[138:141], v26, s[4:5] offset:3872
	v_add_f64 v[68:69], v[48:49], -v[58:59]
	v_add_f64 v[36:37], v[76:77], -v[80:81]
	;; [unrolled: 1-line block ×5, first 2 shown]
	v_add_f64 v[36:37], v[36:37], v[170:171]
	v_add_f64 v[100:101], v[86:87], v[54:55]
	;; [unrolled: 1-line block ×7, first 2 shown]
	v_mul_f64 v[172:173], v[44:45], s[8:9]
	v_add_f64 v[44:45], v[62:63], v[36:37]
	v_mov_b64_e32 v[62:63], v[44:45]
	v_fmac_f64_e32 v[62:63], s[12:13], v[36:37]
	v_add_f64 v[36:37], v[100:101], -v[42:43]
	v_add_f64 v[42:43], v[42:43], -v[74:75]
	v_add_f64 v[48:49], v[48:49], v[58:59]
	v_add_f64 v[58:59], v[98:99], v[158:159]
	v_mul_f64 v[92:93], v[42:43], s[14:15]
	v_add_f64 v[42:43], v[48:49], v[58:59]
	v_add_f64 v[76:77], v[76:77], v[80:81]
	;; [unrolled: 1-line block ×4, first 2 shown]
	v_mov_b64_e32 v[30:31], v[42:43]
	v_add_f64 v[34:35], v[34:35], -v[56:57]
	v_add_f64 v[96:97], v[156:157], -v[96:97]
	v_fmac_f64_e32 v[30:31], s[12:13], v[80:81]
	v_add_f64 v[80:81], v[48:49], -v[76:77]
	v_add_f64 v[76:77], v[76:77], -v[58:59]
	;; [unrolled: 1-line block ×4, first 2 shown]
	v_mul_f64 v[66:67], v[36:37], s[16:17]
	v_mul_f64 v[98:99], v[80:81], s[16:17]
	;; [unrolled: 1-line block ×3, first 2 shown]
	v_add_f64 v[54:55], v[86:87], -v[54:55]
	v_mul_f64 v[156:157], v[56:57], s[8:9]
	v_mul_f64 v[56:57], v[68:69], s[20:21]
	v_add_f64 v[74:75], v[74:75], -v[100:101]
	v_add_f64 v[48:49], v[58:59], -v[48:49]
	v_fma_f64 v[174:175], s[6:7], v[94:95], v[172:173]
	v_fma_f64 v[36:37], s[16:17], v[36:37], v[92:93]
	;; [unrolled: 1-line block ×3, first 2 shown]
	v_add_f64 v[86:87], v[54:55], -v[34:35]
	v_add_f64 v[34:35], v[34:35], v[96:97]
	v_fma_f64 v[94:95], v[94:95], s[18:19], -v[56:57]
	v_fma_f64 v[56:57], v[74:75], s[22:23], -v[66:67]
	;; [unrolled: 1-line block ×3, first 2 shown]
	v_add_f64 v[66:67], v[96:97], -v[54:55]
	v_fma_f64 v[74:75], v[74:75], s[24:25], -v[92:93]
	v_fma_f64 v[48:49], v[48:49], s[24:25], -v[76:77]
	v_add_f64 v[162:163], v[36:37], v[62:63]
	v_add_f64 v[80:81], v[80:81], v[30:31]
	v_fma_f64 v[158:159], s[6:7], v[86:87], v[156:157]
	v_add_f64 v[164:165], v[54:55], v[34:35]
	v_add_f64 v[100:101], v[56:57], v[62:63]
	;; [unrolled: 1-line block ×4, first 2 shown]
	v_fma_f64 v[74:75], v[68:69], s[20:21], -v[172:173]
	v_add_f64 v[30:31], v[48:49], v[30:31]
	v_fma_f64 v[48:49], v[66:67], s[20:21], -v[156:157]
	v_fmac_f64_e32 v[158:159], s[2:3], v[164:165]
	v_fmac_f64_e32 v[74:75], s[2:3], v[176:177]
	;; [unrolled: 1-line block ×3, first 2 shown]
	v_add_f64 v[34:35], v[80:81], -v[158:159]
	v_mul_f64 v[54:55], v[66:67], s[20:21]
	v_add_f64 v[68:69], v[62:63], -v[74:75]
	v_add_f64 v[66:67], v[48:49], v[30:31]
	v_add_f64 v[76:77], v[74:75], v[62:63]
	v_add_f64 v[74:75], v[30:31], -v[48:49]
	v_add_f64 v[96:97], v[158:159], v[80:81]
	s_waitcnt vmcnt(4)
	v_mul_f64 v[30:31], v[78:79], v[132:133]
	s_waitcnt vmcnt(3)
	v_mul_f64 v[48:49], v[84:85], v[150:151]
	v_mul_f64 v[156:157], v[72:73], v[128:129]
	v_fma_f64 v[86:87], v[86:87], s[18:19], -v[54:55]
	s_waitcnt vmcnt(2)
	v_mul_f64 v[158:159], v[82:83], v[136:137]
	v_fma_f64 v[30:31], v[46:47], v[130:131], -v[30:31]
	v_fma_f64 v[48:49], v[52:53], v[148:149], -v[48:49]
	s_waitcnt vmcnt(1)
	v_mul_f64 v[62:63], v[64:65], v[154:155]
	s_waitcnt vmcnt(0)
	v_mul_f64 v[80:81], v[70:71], v[140:141]
	v_fma_f64 v[156:157], v[40:41], v[126:127], -v[156:157]
	v_fma_f64 v[158:159], v[50:51], v[134:135], -v[158:159]
	v_mul_f64 v[46:47], v[46:47], v[132:133]
	v_mul_f64 v[50:51], v[50:51], v[136:137]
	v_fmac_f64_e32 v[86:87], s[2:3], v[164:165]
	v_fma_f64 v[62:63], v[32:33], v[152:153], -v[62:63]
	v_fma_f64 v[80:81], v[38:39], v[138:139], -v[80:81]
	v_fmac_f64_e32 v[46:47], v[78:79], v[130:131]
	v_fmac_f64_e32 v[50:51], v[82:83], v[134:135]
	v_mul_f64 v[82:83], v[40:41], v[128:129]
	v_add_f64 v[128:129], v[30:31], v[48:49]
	v_add_f64 v[130:131], v[156:157], v[158:159]
	v_add_f64 v[54:55], v[58:59], -v[86:87]
	v_add_f64 v[92:93], v[86:87], v[58:59]
	v_add_f64 v[58:59], v[30:31], -v[48:49]
	v_mul_f64 v[52:53], v[52:53], v[150:151]
	v_mul_f64 v[38:39], v[38:39], v[140:141]
	v_add_f64 v[30:31], v[128:129], v[130:131]
	v_add_f64 v[48:49], v[62:63], v[80:81]
	v_add_f64 v[86:87], v[62:63], -v[80:81]
	v_fmac_f64_e32 v[52:53], v[84:85], v[148:149]
	v_fmac_f64_e32 v[82:83], v[72:73], v[126:127]
	;; [unrolled: 1-line block ×3, first 2 shown]
	v_mul_f64 v[70:71], v[32:33], v[154:155]
	v_add_f64 v[62:63], v[48:49], v[30:31]
	v_add_f64 v[78:79], v[46:47], v[52:53]
	;; [unrolled: 1-line block ×3, first 2 shown]
	v_fmac_f64_e32 v[70:71], v[64:65], v[152:153]
	v_add_f64 v[30:31], v[28:29], v[62:63]
	v_add_f64 v[40:41], v[78:79], v[72:73]
	;; [unrolled: 1-line block ×3, first 2 shown]
	v_mov_b64_e32 v[28:29], v[30:31]
	v_fmac_f64_e32 v[174:175], s[2:3], v[176:177]
	v_add_f64 v[40:41], v[64:65], v[40:41]
	v_fmac_f64_e32 v[28:29], s[12:13], v[62:63]
	v_add_f64 v[62:63], v[128:129], -v[48:49]
	v_add_f64 v[48:49], v[48:49], -v[130:131]
	v_add_f64 v[36:37], v[174:175], v[162:163]
	v_fmac_f64_e32 v[94:95], s[2:3], v[176:177]
	v_add_f64 v[98:99], v[162:163], -v[174:175]
	v_add_f64 v[162:163], v[156:157], -v[158:159]
	v_add_f64 v[32:33], v[60:61], v[40:41]
	v_mul_f64 v[132:133], v[48:49], s[14:15]
	v_add_f64 v[56:57], v[94:95], v[100:101]
	v_add_f64 v[94:95], v[100:101], -v[94:95]
	v_add_f64 v[100:101], v[58:59], -v[86:87]
	;; [unrolled: 1-line block ×3, first 2 shown]
	v_add_f64 v[86:87], v[86:87], v[162:163]
	v_mov_b64_e32 v[60:61], v[32:33]
	v_fma_f64 v[48:49], s[16:17], v[62:63], v[132:133]
	v_add_f64 v[38:39], v[70:71], -v[38:39]
	v_add_f64 v[50:51], v[82:83], -v[50:51]
	v_add_f64 v[86:87], v[58:59], v[86:87]
	v_fmac_f64_e32 v[60:61], s[12:13], v[40:41]
	v_add_f64 v[40:41], v[78:79], -v[64:65]
	v_add_f64 v[134:135], v[48:49], v[28:29]
	v_add_f64 v[46:47], v[46:47], -v[52:53]
	v_add_f64 v[48:49], v[38:39], -v[50:51]
	v_add_f64 v[58:59], v[162:163], -v[58:59]
	v_mul_f64 v[164:165], v[164:165], s[8:9]
	v_mul_f64 v[84:85], v[40:41], s[16:17]
	v_add_f64 v[64:65], v[64:65], -v[72:73]
	v_mul_f64 v[80:81], v[62:63], s[16:17]
	v_add_f64 v[52:53], v[46:47], -v[38:39]
	v_mul_f64 v[62:63], v[48:49], s[8:9]
	v_add_f64 v[38:39], v[38:39], v[50:51]
	v_mul_f64 v[48:49], v[58:59], s[20:21]
	v_add_f64 v[72:73], v[72:73], -v[78:79]
	v_add_f64 v[50:51], v[50:51], -v[46:47]
	v_fma_f64 v[166:167], s[6:7], v[100:101], v[164:165]
	v_mul_f64 v[64:65], v[64:65], s[14:15]
	v_add_f64 v[82:83], v[46:47], v[38:39]
	v_fma_f64 v[100:101], v[100:101], s[18:19], -v[48:49]
	v_fma_f64 v[48:49], v[72:73], s[22:23], -v[84:85]
	v_add_f64 v[84:85], v[130:131], -v[128:129]
	v_mul_f64 v[46:47], v[50:51], s[20:21]
	v_mul_hi_u32 v26, v160, s27
	v_fma_f64 v[40:41], s[16:17], v[40:41], v[64:65]
	v_fma_f64 v[70:71], s[6:7], v[52:53], v[62:63]
	v_fma_f64 v[80:81], v[84:85], s[22:23], -v[80:81]
	v_fma_f64 v[128:129], v[52:53], s[18:19], -v[46:47]
	;; [unrolled: 1-line block ×6, first 2 shown]
	v_lshrrev_b32_e32 v26, 7, v26
	v_add_f64 v[126:127], v[40:41], v[60:61]
	v_add_f64 v[78:79], v[48:49], v[60:61]
	;; [unrolled: 1-line block ×4, first 2 shown]
	v_fmac_f64_e32 v[58:59], s[2:3], v[86:87]
	v_add_f64 v[28:29], v[64:65], v[28:29]
	v_fmac_f64_e32 v[62:63], s[2:3], v[82:83]
	v_mul_lo_u32 v26, v26, s26
	v_add_f64 v[52:53], v[60:61], -v[58:59]
	v_add_f64 v[50:51], v[62:63], v[28:29]
	v_add_f64 v[60:61], v[58:59], v[60:61]
	v_add_f64 v[58:59], v[28:29], -v[62:63]
	v_sub_u32_e32 v26, v160, v26
	v_lshl_add_u64 v[28:29], v[146:147], 4, s[10:11]
	v_fmac_f64_e32 v[100:101], s[2:3], v[86:87]
	v_lshl_add_u64 v[28:29], v[142:143], 4, v[28:29]
	v_lshlrev_b32_e32 v26, 4, v26
	v_fmac_f64_e32 v[166:167], s[2:3], v[86:87]
	v_fmac_f64_e32 v[70:71], s[2:3], v[82:83]
	v_add_f64 v[48:49], v[100:101], v[78:79]
	v_add_f64 v[64:65], v[78:79], -v[100:101]
	v_lshl_add_u64 v[78:79], v[28:29], 0, v[26:27]
	s_movk_i32 s10, 0x1000
	v_add_f64 v[38:39], v[134:135], -v[70:71]
	v_fmac_f64_e32 v[128:129], s[2:3], v[82:83]
	v_add_f64 v[72:73], v[126:127], -v[166:167]
	v_add_f64 v[70:71], v[70:71], v[134:135]
	global_store_dwordx4 v[78:79], v[30:33], off
	global_store_dwordx4 v[78:79], v[70:73], off offset:3888
	v_add_f64 v[62:63], v[128:129], v[80:81]
	v_add_co_u32_e32 v30, vcc, s10, v78
	s_movk_i32 s10, 0x2000
	s_nop 0
	v_addc_co_u32_e32 v31, vcc, 0, v79, vcc
	global_store_dwordx4 v[30:31], v[62:65], off offset:3680
	v_add_co_u32_e32 v30, vcc, s10, v78
	s_movk_i32 s10, 0x3000
	s_nop 0
	v_addc_co_u32_e32 v31, vcc, 0, v79, vcc
	global_store_dwordx4 v[30:31], v[58:61], off offset:3472
	;; [unrolled: 5-line block ×3, first 2 shown]
	v_add_co_u32_e32 v30, vcc, s10, v78
	v_add_f64 v[46:47], v[80:81], -v[128:129]
	s_nop 0
	v_addc_co_u32_e32 v31, vcc, 0, v79, vcc
	s_movk_i32 s10, 0x5000
	global_store_dwordx4 v[30:31], v[46:49], off offset:3056
	v_add_co_u32_e32 v30, vcc, s10, v78
	v_add_f64 v[40:41], v[166:167], v[126:127]
	s_nop 0
	v_addc_co_u32_e32 v31, vcc, 0, v79, vcc
	v_add_u32_e32 v26, 63, v160
	global_store_dwordx4 v[30:31], v[38:41], off offset:2848
	v_mul_hi_u32 v30, v26, s27
	v_lshrrev_b32_e32 v30, 7, v30
	v_mul_lo_u32 v31, v30, s26
	v_sub_u32_e32 v26, v26, v31
	v_mad_u64_u32 v[30:31], s[10:11], v30, s28, v[26:27]
	v_mov_b32_e32 v31, v27
	v_lshl_add_u64 v[32:33], v[30:31], 4, v[28:29]
	v_add_u32_e32 v26, 0xf3, v30
	global_store_dwordx4 v[32:33], v[42:45], off
	v_lshl_add_u64 v[32:33], v[26:27], 4, v[28:29]
	v_add_u32_e32 v26, 0x1e6, v30
	global_store_dwordx4 v[32:33], v[96:99], off
	;; [unrolled: 3-line block ×5, first 2 shown]
	v_lshl_add_u64 v[32:33], v[26:27], 4, v[28:29]
	v_add_u32_e32 v26, 0x5b2, v30
	v_lshl_add_u64 v[30:31], v[26:27], 4, v[28:29]
	v_add_u32_e32 v26, 0x7e, v160
	global_store_dwordx4 v[30:31], v[34:37], off
	v_mul_hi_u32 v30, v26, s27
	v_lshrrev_b32_e32 v30, 7, v30
	v_mul_lo_u32 v31, v30, s26
	v_sub_u32_e32 v26, v26, v31
	v_mad_u64_u32 v[30:31], s[10:11], v30, s28, v[26:27]
	v_mov_b32_e32 v31, v27
	global_store_dwordx4 v[32:33], v[54:57], off
	v_lshl_add_u64 v[32:33], v[30:31], 4, v[28:29]
	v_add_u32_e32 v26, 0xf3, v30
	global_store_dwordx4 v[32:33], v[106:109], off
	v_lshl_add_u64 v[32:33], v[26:27], 4, v[28:29]
	v_add_u32_e32 v26, 0x1e6, v30
	;; [unrolled: 3-line block ×6, first 2 shown]
	v_lshl_add_u64 v[30:31], v[26:27], 4, v[28:29]
	global_store_dwordx4 v[30:31], v[88:91], off
	v_add_u32_e32 v30, 0xbd, v160
	v_cmp_gt_u32_e32 vcc, s26, v30
	global_store_dwordx4 v[32:33], v[102:105], off
	s_and_b64 exec, exec, vcc
	s_cbranch_execz .LBB0_20
; %bb.19:
	v_subrev_u32_e32 v26, 54, v160
	v_cndmask_b32_e64 v26, v26, v161, s[0:1]
	v_mul_i32_i24_e32 v26, 6, v26
	v_lshl_add_u64 v[56:57], v[26:27], 4, s[4:5]
	global_load_dwordx4 v[32:35], v[56:57], off offset:3840
	global_load_dwordx4 v[36:39], v[56:57], off offset:3856
	;; [unrolled: 1-line block ×6, first 2 shown]
	v_mov_b32_e32 v31, v27
	v_add_u32_e32 v26, 0x1b0, v160
	s_waitcnt vmcnt(5)
	v_mul_f64 v[56:57], v[22:23], v[34:35]
	v_mul_f64 v[34:35], v[16:17], v[34:35]
	s_waitcnt vmcnt(4)
	v_mul_f64 v[58:59], v[10:11], v[38:39]
	v_mul_f64 v[38:39], v[4:5], v[38:39]
	;; [unrolled: 3-line block ×4, first 2 shown]
	v_mul_f64 v[60:61], v[12:13], v[42:43]
	v_mul_f64 v[42:43], v[6:7], v[42:43]
	;; [unrolled: 1-line block ×4, first 2 shown]
	v_fma_f64 v[16:17], v[16:17], v[32:33], -v[56:57]
	v_fmac_f64_e32 v[34:35], v[22:23], v[32:33]
	v_fma_f64 v[4:5], v[4:5], v[36:37], -v[58:59]
	v_fmac_f64_e32 v[38:39], v[10:11], v[36:37]
	;; [unrolled: 2-line block ×6, first 2 shown]
	v_add_f64 v[8:9], v[16:17], v[2:3]
	v_add_f64 v[12:13], v[34:35], v[54:55]
	;; [unrolled: 1-line block ×4, first 2 shown]
	v_add_f64 v[2:3], v[16:17], -v[2:3]
	v_add_f64 v[16:17], v[34:35], -v[54:55]
	;; [unrolled: 1-line block ×4, first 2 shown]
	v_add_f64 v[24:25], v[6:7], v[10:11]
	v_add_f64 v[32:33], v[42:43], v[46:47]
	v_add_f64 v[6:7], v[10:11], -v[6:7]
	v_add_f64 v[10:11], v[46:47], -v[42:43]
	v_add_f64 v[34:35], v[18:19], v[8:9]
	v_add_f64 v[36:37], v[22:23], v[12:13]
	v_add_f64 v[38:39], v[18:19], -v[8:9]
	v_add_f64 v[40:41], v[22:23], -v[12:13]
	;; [unrolled: 1-line block ×6, first 2 shown]
	v_add_f64 v[42:43], v[6:7], v[0:1]
	v_add_f64 v[44:45], v[10:11], v[4:5]
	v_add_f64 v[46:47], v[6:7], -v[0:1]
	v_add_f64 v[48:49], v[10:11], -v[4:5]
	;; [unrolled: 1-line block ×3, first 2 shown]
	v_add_f64 v[24:25], v[24:25], v[34:35]
	v_add_f64 v[32:33], v[32:33], v[36:37]
	v_add_f64 v[6:7], v[2:3], -v[6:7]
	v_add_f64 v[10:11], v[16:17], -v[10:11]
	;; [unrolled: 1-line block ×3, first 2 shown]
	v_add_f64 v[34:35], v[42:43], v[2:3]
	v_add_f64 v[16:17], v[44:45], v[16:17]
	v_mul_f64 v[8:9], v[8:9], s[16:17]
	v_mul_f64 v[12:13], v[12:13], s[16:17]
	;; [unrolled: 1-line block ×7, first 2 shown]
	v_add_f64 v[0:1], v[14:15], v[24:25]
	v_add_f64 v[2:3], v[20:21], v[32:33]
	v_mul_f64 v[52:53], v[4:5], s[20:21]
	v_fma_f64 v[14:15], s[14:15], v[18:19], v[8:9]
	v_fma_f64 v[18:19], v[38:39], s[24:25], -v[36:37]
	v_fma_f64 v[20:21], v[40:41], s[24:25], -v[42:43]
	v_fma_f64 v[8:9], v[38:39], s[22:23], -v[8:9]
	v_fma_f64 v[36:37], v[40:41], s[22:23], -v[12:13]
	v_fma_f64 v[38:39], s[6:7], v[6:7], v[44:45]
	v_fma_f64 v[40:41], v[4:5], s[20:21], -v[46:47]
	v_fma_f64 v[42:43], v[6:7], s[18:19], -v[48:49]
	v_mov_b64_e32 v[4:5], v[0:1]
	v_mov_b64_e32 v[6:7], v[2:3]
	v_fmac_f64_e32 v[12:13], s[14:15], v[22:23]
	v_fma_f64 v[22:23], v[50:51], s[20:21], -v[44:45]
	v_fmac_f64_e32 v[46:47], s[6:7], v[10:11]
	v_fma_f64 v[44:45], v[10:11], s[18:19], -v[52:53]
	v_fmac_f64_e32 v[4:5], s[12:13], v[24:25]
	v_fmac_f64_e32 v[6:7], s[12:13], v[32:33]
	v_add_f64 v[24:25], v[14:15], v[4:5]
	v_add_f64 v[18:19], v[18:19], v[4:5]
	;; [unrolled: 1-line block ×4, first 2 shown]
	v_fmac_f64_e32 v[46:47], s[2:3], v[16:17]
	v_fmac_f64_e32 v[22:23], s[2:3], v[34:35]
	;; [unrolled: 1-line block ×4, first 2 shown]
	v_add_f64 v[48:49], v[12:13], v[6:7]
	v_fmac_f64_e32 v[38:39], s[2:3], v[34:35]
	v_add_f64 v[4:5], v[46:47], v[24:25]
	v_add_f64 v[8:9], v[44:45], v[32:33]
	v_add_f64 v[12:13], v[18:19], -v[40:41]
	v_add_f64 v[14:15], v[22:23], v[20:21]
	v_add_f64 v[16:17], v[40:41], v[18:19]
	v_add_f64 v[18:19], v[20:21], -v[22:23]
	v_add_f64 v[20:21], v[32:33], -v[44:45]
	;; [unrolled: 1-line block ×3, first 2 shown]
	v_lshl_add_u64 v[24:25], v[30:31], 4, v[28:29]
	v_add_f64 v[36:37], v[36:37], v[6:7]
	v_fmac_f64_e32 v[42:43], s[2:3], v[34:35]
	v_add_f64 v[6:7], v[48:49], -v[38:39]
	global_store_dwordx4 v[24:25], v[0:3], off
	v_add_f64 v[10:11], v[36:37], -v[42:43]
	v_add_f64 v[22:23], v[42:43], v[36:37]
	v_lshl_add_u64 v[0:1], v[26:27], 4, v[28:29]
	v_add_u32_e32 v26, 0x2a3, v160
	global_store_dwordx4 v[0:1], v[4:7], off
	v_lshl_add_u64 v[0:1], v[26:27], 4, v[28:29]
	v_add_u32_e32 v26, 0x396, v160
	global_store_dwordx4 v[0:1], v[8:11], off
	;; [unrolled: 3-line block ×4, first 2 shown]
	v_lshl_add_u64 v[0:1], v[26:27], 4, v[28:29]
	v_add_u32_e32 v26, 0x66f, v160
	v_add_f64 v[34:35], v[38:39], v[48:49]
	global_store_dwordx4 v[0:1], v[20:23], off
	v_lshl_add_u64 v[0:1], v[26:27], 4, v[28:29]
	global_store_dwordx4 v[0:1], v[32:35], off
.LBB0_20:
	s_endpgm
	.section	.rodata,"a",@progbits
	.p2align	6, 0x0
	.amdhsa_kernel fft_rtc_fwd_len1701_factors_3_3_3_3_3_7_wgs_63_tpt_63_halfLds_dp_op_CI_CI_unitstride_sbrr_dirReg
		.amdhsa_group_segment_fixed_size 0
		.amdhsa_private_segment_fixed_size 0
		.amdhsa_kernarg_size 104
		.amdhsa_user_sgpr_count 2
		.amdhsa_user_sgpr_dispatch_ptr 0
		.amdhsa_user_sgpr_queue_ptr 0
		.amdhsa_user_sgpr_kernarg_segment_ptr 1
		.amdhsa_user_sgpr_dispatch_id 0
		.amdhsa_user_sgpr_kernarg_preload_length 0
		.amdhsa_user_sgpr_kernarg_preload_offset 0
		.amdhsa_user_sgpr_private_segment_size 0
		.amdhsa_uses_dynamic_stack 0
		.amdhsa_enable_private_segment 0
		.amdhsa_system_sgpr_workgroup_id_x 1
		.amdhsa_system_sgpr_workgroup_id_y 0
		.amdhsa_system_sgpr_workgroup_id_z 0
		.amdhsa_system_sgpr_workgroup_info 0
		.amdhsa_system_vgpr_workitem_id 0
		.amdhsa_next_free_vgpr 211
		.amdhsa_next_free_sgpr 29
		.amdhsa_accum_offset 212
		.amdhsa_reserve_vcc 1
		.amdhsa_float_round_mode_32 0
		.amdhsa_float_round_mode_16_64 0
		.amdhsa_float_denorm_mode_32 3
		.amdhsa_float_denorm_mode_16_64 3
		.amdhsa_dx10_clamp 1
		.amdhsa_ieee_mode 1
		.amdhsa_fp16_overflow 0
		.amdhsa_tg_split 0
		.amdhsa_exception_fp_ieee_invalid_op 0
		.amdhsa_exception_fp_denorm_src 0
		.amdhsa_exception_fp_ieee_div_zero 0
		.amdhsa_exception_fp_ieee_overflow 0
		.amdhsa_exception_fp_ieee_underflow 0
		.amdhsa_exception_fp_ieee_inexact 0
		.amdhsa_exception_int_div_zero 0
	.end_amdhsa_kernel
	.text
.Lfunc_end0:
	.size	fft_rtc_fwd_len1701_factors_3_3_3_3_3_7_wgs_63_tpt_63_halfLds_dp_op_CI_CI_unitstride_sbrr_dirReg, .Lfunc_end0-fft_rtc_fwd_len1701_factors_3_3_3_3_3_7_wgs_63_tpt_63_halfLds_dp_op_CI_CI_unitstride_sbrr_dirReg
                                        ; -- End function
	.section	.AMDGPU.csdata,"",@progbits
; Kernel info:
; codeLenInByte = 18604
; NumSgprs: 35
; NumVgprs: 211
; NumAgprs: 0
; TotalNumVgprs: 211
; ScratchSize: 0
; MemoryBound: 1
; FloatMode: 240
; IeeeMode: 1
; LDSByteSize: 0 bytes/workgroup (compile time only)
; SGPRBlocks: 4
; VGPRBlocks: 26
; NumSGPRsForWavesPerEU: 35
; NumVGPRsForWavesPerEU: 211
; AccumOffset: 212
; Occupancy: 2
; WaveLimiterHint : 1
; COMPUTE_PGM_RSRC2:SCRATCH_EN: 0
; COMPUTE_PGM_RSRC2:USER_SGPR: 2
; COMPUTE_PGM_RSRC2:TRAP_HANDLER: 0
; COMPUTE_PGM_RSRC2:TGID_X_EN: 1
; COMPUTE_PGM_RSRC2:TGID_Y_EN: 0
; COMPUTE_PGM_RSRC2:TGID_Z_EN: 0
; COMPUTE_PGM_RSRC2:TIDIG_COMP_CNT: 0
; COMPUTE_PGM_RSRC3_GFX90A:ACCUM_OFFSET: 52
; COMPUTE_PGM_RSRC3_GFX90A:TG_SPLIT: 0
	.text
	.p2alignl 6, 3212836864
	.fill 256, 4, 3212836864
	.type	__hip_cuid_e05c29086393345d,@object ; @__hip_cuid_e05c29086393345d
	.section	.bss,"aw",@nobits
	.globl	__hip_cuid_e05c29086393345d
__hip_cuid_e05c29086393345d:
	.byte	0                               ; 0x0
	.size	__hip_cuid_e05c29086393345d, 1

	.ident	"AMD clang version 19.0.0git (https://github.com/RadeonOpenCompute/llvm-project roc-6.4.0 25133 c7fe45cf4b819c5991fe208aaa96edf142730f1d)"
	.section	".note.GNU-stack","",@progbits
	.addrsig
	.addrsig_sym __hip_cuid_e05c29086393345d
	.amdgpu_metadata
---
amdhsa.kernels:
  - .agpr_count:     0
    .args:
      - .actual_access:  read_only
        .address_space:  global
        .offset:         0
        .size:           8
        .value_kind:     global_buffer
      - .offset:         8
        .size:           8
        .value_kind:     by_value
      - .actual_access:  read_only
        .address_space:  global
        .offset:         16
        .size:           8
        .value_kind:     global_buffer
      - .actual_access:  read_only
        .address_space:  global
        .offset:         24
        .size:           8
        .value_kind:     global_buffer
      - .actual_access:  read_only
        .address_space:  global
        .offset:         32
        .size:           8
        .value_kind:     global_buffer
      - .offset:         40
        .size:           8
        .value_kind:     by_value
      - .actual_access:  read_only
        .address_space:  global
        .offset:         48
        .size:           8
        .value_kind:     global_buffer
      - .actual_access:  read_only
        .address_space:  global
        .offset:         56
        .size:           8
        .value_kind:     global_buffer
      - .offset:         64
        .size:           4
        .value_kind:     by_value
      - .actual_access:  read_only
        .address_space:  global
        .offset:         72
        .size:           8
        .value_kind:     global_buffer
      - .actual_access:  read_only
        .address_space:  global
        .offset:         80
        .size:           8
        .value_kind:     global_buffer
      - .actual_access:  read_only
        .address_space:  global
        .offset:         88
        .size:           8
        .value_kind:     global_buffer
      - .actual_access:  write_only
        .address_space:  global
        .offset:         96
        .size:           8
        .value_kind:     global_buffer
    .group_segment_fixed_size: 0
    .kernarg_segment_align: 8
    .kernarg_segment_size: 104
    .language:       OpenCL C
    .language_version:
      - 2
      - 0
    .max_flat_workgroup_size: 63
    .name:           fft_rtc_fwd_len1701_factors_3_3_3_3_3_7_wgs_63_tpt_63_halfLds_dp_op_CI_CI_unitstride_sbrr_dirReg
    .private_segment_fixed_size: 0
    .sgpr_count:     35
    .sgpr_spill_count: 0
    .symbol:         fft_rtc_fwd_len1701_factors_3_3_3_3_3_7_wgs_63_tpt_63_halfLds_dp_op_CI_CI_unitstride_sbrr_dirReg.kd
    .uniform_work_group_size: 1
    .uses_dynamic_stack: false
    .vgpr_count:     211
    .vgpr_spill_count: 0
    .wavefront_size: 64
amdhsa.target:   amdgcn-amd-amdhsa--gfx950
amdhsa.version:
  - 1
  - 2
...

	.end_amdgpu_metadata
